;; amdgpu-corpus repo=ROCm/rocFFT kind=compiled arch=gfx1030 opt=O3
	.text
	.amdgcn_target "amdgcn-amd-amdhsa--gfx1030"
	.amdhsa_code_object_version 6
	.protected	bluestein_single_fwd_len455_dim1_sp_op_CI_CI ; -- Begin function bluestein_single_fwd_len455_dim1_sp_op_CI_CI
	.globl	bluestein_single_fwd_len455_dim1_sp_op_CI_CI
	.p2align	8
	.type	bluestein_single_fwd_len455_dim1_sp_op_CI_CI,@function
bluestein_single_fwd_len455_dim1_sp_op_CI_CI: ; @bluestein_single_fwd_len455_dim1_sp_op_CI_CI
; %bb.0:
	s_load_dwordx4 s[0:3], s[4:5], 0x28
	v_mul_u32_u24_e32 v1, 0x3f1, v0
	v_lshrrev_b32_e32 v1, 16, v1
	v_mad_u64_u32 v[60:61], null, s6, 3, v[1:2]
	v_mov_b32_e32 v61, 0
	s_waitcnt lgkmcnt(0)
	v_cmp_gt_u64_e32 vcc_lo, s[0:1], v[60:61]
	s_and_saveexec_b32 s0, vcc_lo
	s_cbranch_execz .LBB0_23
; %bb.1:
	v_mul_hi_u32 v2, 0xaaaaaaab, v60
	s_clause 0x1
	s_load_dwordx2 s[14:15], s[4:5], 0x0
	s_load_dwordx2 s[12:13], s[4:5], 0x38
	v_mul_lo_u16 v1, 0x41, v1
	v_sub_nc_u16 v0, v0, v1
	v_lshrrev_b32_e32 v2, 1, v2
	v_and_b32_e32 v65, 0xffff, v0
	v_lshl_add_u32 v2, v2, 1, v2
	v_cmp_gt_u16_e32 vcc_lo, 35, v0
	v_lshlrev_b32_e32 v66, 3, v65
	v_sub_nc_u32_e32 v1, v60, v2
	v_mul_u32_u24_e32 v42, 0x1c7, v1
	v_lshlrev_b32_e32 v67, 3, v42
	s_and_saveexec_b32 s1, vcc_lo
	s_cbranch_execz .LBB0_3
; %bb.2:
	s_load_dwordx2 s[6:7], s[4:5], 0x18
	s_waitcnt lgkmcnt(0)
	v_add_co_u32 v20, s0, s14, v66
	v_add_co_ci_u32_e64 v21, null, s15, 0, s0
	v_add_nc_u32_e32 v55, v67, v66
	v_lshl_add_u32 v56, v65, 3, v67
	v_add_nc_u32_e32 v57, 0x400, v55
	s_load_dwordx4 s[8:11], s[6:7], 0x0
	s_waitcnt lgkmcnt(0)
	v_mad_u64_u32 v[0:1], null, s10, v60, 0
	v_mad_u64_u32 v[2:3], null, s8, v65, 0
	s_mul_i32 s6, s9, 0x118
	s_mul_hi_u32 s7, s8, 0x118
	s_add_i32 s7, s7, s6
	v_mad_u64_u32 v[4:5], null, s11, v60, v[1:2]
	v_mad_u64_u32 v[5:6], null, s9, v65, v[3:4]
	v_mov_b32_e32 v1, v4
	s_clause 0x3
	global_load_dwordx2 v[6:7], v66, s[14:15]
	global_load_dwordx2 v[8:9], v66, s[14:15] offset:280
	global_load_dwordx2 v[10:11], v66, s[14:15] offset:560
	;; [unrolled: 1-line block ×3, first 2 shown]
	v_lshlrev_b64 v[0:1], 3, v[0:1]
	v_mov_b32_e32 v3, v5
	s_clause 0x3
	global_load_dwordx2 v[4:5], v66, s[14:15] offset:1120
	global_load_dwordx2 v[14:15], v66, s[14:15] offset:1400
	;; [unrolled: 1-line block ×4, first 2 shown]
	v_add_co_u32 v0, s0, s2, v0
	v_lshlrev_b64 v[2:3], 3, v[2:3]
	v_add_co_ci_u32_e64 v1, s0, s3, v1, s0
	s_mul_i32 s2, s8, 0x118
	v_add_co_u32 v0, s0, v0, v2
	v_add_co_ci_u32_e64 v1, s0, v1, v3, s0
	v_add_co_u32 v2, s0, v0, s2
	v_add_co_ci_u32_e64 v3, s0, s7, v1, s0
	;; [unrolled: 2-line block ×4, first 2 shown]
	s_clause 0x2
	global_load_dwordx2 v[24:25], v[20:21], off offset:192
	global_load_dwordx2 v[26:27], v[20:21], off offset:472
	;; [unrolled: 1-line block ×3, first 2 shown]
	v_add_co_u32 v30, s0, v22, s2
	v_add_co_ci_u32_e64 v31, s0, s7, v23, s0
	global_load_dwordx2 v[0:1], v[0:1], off
	v_add_co_u32 v32, s0, v30, s2
	v_add_co_ci_u32_e64 v33, s0, s7, v31, s0
	s_clause 0x2
	global_load_dwordx2 v[2:3], v[2:3], off
	global_load_dwordx2 v[22:23], v[22:23], off
	;; [unrolled: 1-line block ×3, first 2 shown]
	v_add_co_u32 v34, s0, v32, s2
	v_add_co_ci_u32_e64 v35, s0, s7, v33, s0
	global_load_dwordx2 v[32:33], v[32:33], off
	v_add_co_u32 v36, s0, v34, s2
	v_add_co_ci_u32_e64 v37, s0, s7, v35, s0
	global_load_dwordx2 v[34:35], v[34:35], off
	;; [unrolled: 3-line block ×7, first 2 shown]
	v_add_co_u32 v49, s0, v47, s2
	v_add_co_ci_u32_e64 v50, s0, s7, v48, s0
	global_load_dwordx2 v[51:52], v[20:21], off offset:1032
	global_load_dwordx2 v[47:48], v[47:48], off
	global_load_dwordx2 v[20:21], v[20:21], off offset:1312
	global_load_dwordx2 v[49:50], v[49:50], off
	s_waitcnt vmcnt(14)
	v_mul_f32_e32 v53, v1, v7
	v_mul_f32_e32 v54, v0, v7
	s_waitcnt vmcnt(12)
	v_mul_f32_e32 v7, v23, v11
	v_fmac_f32_e32 v53, v0, v6
	v_mul_f32_e32 v0, v3, v9
	v_mul_f32_e32 v9, v2, v9
	;; [unrolled: 1-line block ×3, first 2 shown]
	v_fma_f32 v54, v1, v6, -v54
	v_fmac_f32_e32 v7, v22, v10
	v_fmac_f32_e32 v0, v2, v8
	v_fma_f32 v1, v3, v8, -v9
	v_fma_f32 v8, v23, v10, -v11
	ds_write_b64 v56, v[53:54]
	s_waitcnt vmcnt(11)
	v_mul_f32_e32 v2, v31, v13
	v_mul_f32_e32 v3, v30, v13
	v_add_nc_u32_e32 v22, 0x800, v55
	ds_write2_b64 v55, v[0:1], v[7:8] offset0:35 offset1:70
	s_waitcnt vmcnt(10)
	v_mul_f32_e32 v0, v33, v5
	v_mul_f32_e32 v1, v32, v5
	s_waitcnt vmcnt(9)
	v_mul_f32_e32 v5, v35, v15
	s_waitcnt vmcnt(8)
	v_mul_f32_e32 v7, v37, v17
	v_mul_f32_e32 v8, v36, v17
	v_fmac_f32_e32 v0, v32, v4
	v_fma_f32 v1, v33, v4, -v1
	v_mul_f32_e32 v4, v34, v15
	s_waitcnt vmcnt(7)
	v_mul_f32_e32 v9, v39, v19
	v_fmac_f32_e32 v2, v30, v12
	v_fma_f32 v3, v31, v12, -v3
	s_waitcnt vmcnt(6)
	v_mul_f32_e32 v11, v41, v25
	v_fma_f32 v6, v35, v14, -v4
	v_mul_f32_e32 v4, v38, v19
	v_fmac_f32_e32 v5, v34, v14
	v_fmac_f32_e32 v9, v38, v18
	s_waitcnt vmcnt(5)
	v_mul_f32_e32 v13, v44, v27
	v_mul_f32_e32 v14, v43, v27
	v_fma_f32 v10, v39, v18, -v4
	v_mul_f32_e32 v4, v40, v25
	v_fmac_f32_e32 v7, v36, v16
	s_waitcnt vmcnt(4)
	v_mul_f32_e32 v15, v46, v29
	v_fma_f32 v8, v37, v16, -v8
	v_fmac_f32_e32 v11, v40, v24
	v_fma_f32 v12, v41, v24, -v4
	v_mul_f32_e32 v4, v45, v29
	s_waitcnt vmcnt(2)
	v_mul_f32_e32 v17, v48, v52
	v_mul_f32_e32 v18, v47, v52
	s_waitcnt vmcnt(0)
	v_mul_f32_e32 v19, v50, v21
	v_mul_f32_e32 v21, v49, v21
	v_fmac_f32_e32 v13, v43, v26
	v_fma_f32 v14, v44, v26, -v14
	v_fmac_f32_e32 v15, v45, v28
	v_fma_f32 v16, v46, v28, -v4
	;; [unrolled: 2-line block ×4, first 2 shown]
	ds_write2_b64 v55, v[2:3], v[0:1] offset0:105 offset1:140
	ds_write2_b64 v55, v[5:6], v[7:8] offset0:175 offset1:210
	ds_write2_b64 v57, v[9:10], v[11:12] offset0:117 offset1:152
	ds_write2_b64 v22, v[13:14], v[15:16] offset0:59 offset1:94
	ds_write2_b64 v22, v[17:18], v[19:20] offset0:129 offset1:164
.LBB0_3:
	s_or_b32 exec_lo, exec_lo, s1
	v_mov_b32_e32 v16, 0
	v_mov_b32_e32 v17, 0
	s_waitcnt lgkmcnt(0)
	s_barrier
	buffer_gl0_inv
                                        ; implicit-def: $vgpr14
                                        ; implicit-def: $vgpr4
                                        ; implicit-def: $vgpr8
                                        ; implicit-def: $vgpr28
                                        ; implicit-def: $vgpr22
                                        ; implicit-def: $vgpr26
	s_and_saveexec_b32 s0, vcc_lo
	s_cbranch_execz .LBB0_5
; %bb.4:
	v_lshl_add_u32 v0, v42, 3, v66
	v_add_nc_u32_e32 v1, 0x800, v0
	ds_read2_b64 v[16:19], v0 offset1:35
	ds_read2_b64 v[24:27], v0 offset0:70 offset1:105
	ds_read2_b64 v[20:23], v0 offset0:140 offset1:175
	;; [unrolled: 1-line block ×5, first 2 shown]
	ds_read_b64 v[28:29], v0 offset:3360
.LBB0_5:
	s_or_b32 exec_lo, exec_lo, s0
	s_waitcnt lgkmcnt(0)
	v_sub_f32_e32 v37, v19, v29
	v_sub_f32_e32 v36, v18, v28
	v_add_f32_e32 v53, v28, v18
	v_sub_f32_e32 v39, v25, v11
	v_add_f32_e32 v54, v29, v19
	v_mul_f32_e32 v43, 0xbeedf032, v37
	v_mul_f32_e32 v44, 0xbeedf032, v36
	v_add_f32_e32 v55, v10, v24
	v_sub_f32_e32 v38, v24, v10
	v_mul_f32_e32 v45, 0xbf52af12, v39
	v_fmamk_f32 v0, v53, 0x3f62ad3f, v43
	v_sub_f32_e32 v40, v27, v9
	v_fma_f32 v1, 0x3f62ad3f, v54, -v44
	v_add_f32_e32 v58, v11, v25
	v_mul_f32_e32 v46, 0xbf52af12, v38
	v_add_f32_e32 v0, v0, v16
	v_fmamk_f32 v2, v55, 0x3f116cb1, v45
	v_sub_f32_e32 v41, v26, v8
	v_add_f32_e32 v59, v8, v26
	v_mul_f32_e32 v47, 0xbf7e222b, v40
	v_sub_f32_e32 v69, v21, v7
	v_add_f32_e32 v1, v1, v17
	v_fma_f32 v3, 0x3f116cb1, v58, -v46
	v_add_f32_e32 v0, v2, v0
	v_add_f32_e32 v61, v9, v27
	v_mul_f32_e32 v48, 0xbf7e222b, v41
	v_fmamk_f32 v2, v59, 0x3df6dbef, v47
	v_sub_f32_e32 v108, v20, v6
	v_add_f32_e32 v62, v6, v20
	v_mul_f32_e32 v49, 0xbf6f5d39, v69
	v_sub_f32_e32 v109, v23, v5
	v_add_f32_e32 v1, v3, v1
	v_fma_f32 v3, 0x3df6dbef, v61, -v48
	v_add_f32_e32 v63, v7, v21
	v_mul_f32_e32 v50, 0xbf6f5d39, v108
	v_add_f32_e32 v0, v2, v0
	v_fmamk_f32 v2, v62, 0xbeb58ec6, v49
	v_sub_f32_e32 v110, v22, v4
	v_add_f32_e32 v70, v4, v22
	v_mul_f32_e32 v51, 0xbf29c268, v109
	v_add_f32_e32 v1, v3, v1
	v_fma_f32 v3, 0xbeb58ec6, v63, -v50
	v_add_f32_e32 v71, v5, v23
	v_mul_f32_e32 v52, 0xbf29c268, v110
	v_add_f32_e32 v0, v2, v0
	v_fmamk_f32 v2, v70, 0xbf3f9e67, v51
	v_mul_f32_e32 v72, 0xbf52af12, v37
	v_add_f32_e32 v1, v3, v1
	v_fma_f32 v3, 0xbf3f9e67, v71, -v52
	v_mul_f32_e32 v73, 0xbf6f5d39, v39
	v_add_f32_e32 v0, v2, v0
	v_fmamk_f32 v2, v53, 0x3f116cb1, v72
	v_mul_f32_e32 v77, 0xbf52af12, v36
	v_add_f32_e32 v1, v3, v1
	v_sub_f32_e32 v111, v13, v15
	v_fmamk_f32 v3, v55, 0xbeb58ec6, v73
	v_add_f32_e32 v2, v2, v16
	v_fma_f32 v30, 0x3f116cb1, v54, -v77
	v_mul_f32_e32 v80, 0xbf6f5d39, v38
	v_mul_f32_e32 v74, 0xbe750f2a, v40
	v_sub_f32_e32 v112, v12, v14
	v_add_f32_e32 v82, v14, v12
	v_mul_f32_e32 v56, 0xbe750f2a, v111
	v_add_f32_e32 v2, v3, v2
	v_add_f32_e32 v3, v30, v17
	v_fma_f32 v30, 0xbeb58ec6, v58, -v80
	v_fmamk_f32 v32, v59, 0xbf788fa5, v74
	v_mul_f32_e32 v76, 0xbe750f2a, v41
	v_mul_f32_e32 v75, 0x3f29c268, v69
	v_add_f32_e32 v83, v15, v13
	v_mul_f32_e32 v57, 0xbe750f2a, v112
	v_fmamk_f32 v31, v82, 0xbf788fa5, v56
	v_add_f32_e32 v3, v30, v3
	v_add_f32_e32 v30, v32, v2
	v_fma_f32 v32, 0xbf788fa5, v61, -v76
	v_fmamk_f32 v34, v62, 0xbf3f9e67, v75
	v_mul_f32_e32 v78, 0x3f29c268, v108
	v_mul_f32_e32 v64, 0x3f7e222b, v109
	v_fma_f32 v33, 0xbf788fa5, v83, -v57
	v_add_f32_e32 v2, v31, v0
	v_add_f32_e32 v0, v32, v3
	;; [unrolled: 1-line block ×3, first 2 shown]
	v_fma_f32 v31, 0xbf3f9e67, v63, -v78
	v_fmamk_f32 v32, v70, 0x3df6dbef, v64
	v_mul_f32_e32 v81, 0x3f7e222b, v110
	v_mul_f32_e32 v87, 0xbf7e222b, v37
	v_add_f32_e32 v3, v33, v1
	v_add_f32_e32 v0, v31, v0
	;; [unrolled: 1-line block ×3, first 2 shown]
	v_fma_f32 v30, 0x3df6dbef, v71, -v81
	v_mul_f32_e32 v68, 0x3eedf032, v111
	v_fmamk_f32 v31, v53, 0x3df6dbef, v87
	v_mul_f32_e32 v88, 0xbe750f2a, v39
	v_mul_f32_e32 v90, 0xbf7e222b, v36
	v_add_f32_e32 v30, v30, v0
	v_fmamk_f32 v0, v82, 0x3f62ad3f, v68
	v_add_f32_e32 v31, v31, v16
	v_fmamk_f32 v32, v55, 0xbf788fa5, v88
	v_fma_f32 v33, 0x3df6dbef, v54, -v90
	v_mul_f32_e32 v91, 0xbe750f2a, v38
	v_mul_f32_e32 v86, 0x3f6f5d39, v40
	v_add_f32_e32 v0, v0, v1
	v_add_f32_e32 v1, v32, v31
	;; [unrolled: 1-line block ×3, first 2 shown]
	v_fma_f32 v32, 0xbf788fa5, v58, -v91
	v_fmamk_f32 v33, v59, 0xbeb58ec6, v86
	v_mul_f32_e32 v92, 0x3f6f5d39, v41
	v_mul_f32_e32 v84, 0x3eedf032, v69
	;; [unrolled: 1-line block ×3, first 2 shown]
	v_add_f32_e32 v31, v32, v31
	v_add_f32_e32 v1, v33, v1
	v_fma_f32 v32, 0xbeb58ec6, v61, -v92
	v_fmamk_f32 v33, v62, 0x3f62ad3f, v84
	v_mul_f32_e32 v94, 0x3eedf032, v108
	v_mul_f32_e32 v85, 0xbf52af12, v109
	v_fma_f32 v34, 0x3f62ad3f, v83, -v79
	v_add_f32_e32 v31, v32, v31
	v_add_f32_e32 v32, v33, v1
	v_fma_f32 v33, 0x3f62ad3f, v63, -v94
	v_fmamk_f32 v35, v70, 0x3f116cb1, v85
	v_mul_f32_e32 v93, 0xbf52af12, v110
	v_mul_f32_e32 v99, 0xbf6f5d39, v37
	v_add_f32_e32 v1, v34, v30
	v_add_f32_e32 v30, v33, v31
	;; [unrolled: 1-line block ×3, first 2 shown]
	v_fma_f32 v32, 0x3f116cb1, v71, -v93
	v_mul_f32_e32 v89, 0xbf29c268, v111
	v_fmamk_f32 v33, v53, 0xbeb58ec6, v99
	v_mul_f32_e32 v100, 0x3f29c268, v39
	v_mul_f32_e32 v103, 0xbf6f5d39, v36
	v_add_f32_e32 v30, v32, v30
	v_fmamk_f32 v32, v82, 0xbf3f9e67, v89
	v_add_f32_e32 v33, v33, v16
	v_fmamk_f32 v35, v55, 0xbf3f9e67, v100
	v_fma_f32 v95, 0xbeb58ec6, v54, -v103
	v_mul_f32_e32 v105, 0x3f29c268, v38
	v_mul_f32_e32 v96, 0x3eedf032, v40
	v_add_f32_e32 v34, v32, v31
	v_add_f32_e32 v31, v35, v33
	;; [unrolled: 1-line block ×3, first 2 shown]
	v_fma_f32 v33, 0xbf3f9e67, v58, -v105
	v_fmamk_f32 v35, v59, 0x3f62ad3f, v96
	v_mul_f32_e32 v106, 0x3eedf032, v41
	v_mul_f32_e32 v97, 0xbf7e222b, v69
	;; [unrolled: 1-line block ×3, first 2 shown]
	v_add_f32_e32 v32, v33, v32
	v_add_f32_e32 v31, v35, v31
	v_fma_f32 v33, 0x3f62ad3f, v61, -v106
	v_fmamk_f32 v35, v62, 0x3df6dbef, v97
	v_mul_f32_e32 v102, 0xbf7e222b, v108
	v_mul_f32_e32 v98, 0x3e750f2a, v109
	v_fma_f32 v101, 0xbf3f9e67, v83, -v95
	v_add_f32_e32 v32, v33, v32
	v_add_f32_e32 v31, v35, v31
	v_fma_f32 v33, 0x3df6dbef, v63, -v102
	v_fmamk_f32 v107, v70, 0xbf788fa5, v98
	v_mul_f32_e32 v104, 0x3e750f2a, v110
	v_add_f32_e32 v35, v101, v30
	v_mul_f32_e32 v30, 0xbf29c268, v37
	v_add_f32_e32 v32, v33, v32
	v_add_f32_e32 v31, v107, v31
	v_fma_f32 v33, 0xbf788fa5, v71, -v104
	v_mul_f32_e32 v101, 0x3f52af12, v111
	v_fma_f32 v107, 0xbf3f9e67, v53, -v30
	v_mul_f32_e32 v113, 0x3f7e222b, v39
	v_mul_f32_e32 v114, 0xbf29c268, v36
	v_add_f32_e32 v33, v33, v32
	v_fmamk_f32 v32, v82, 0x3f116cb1, v101
	v_add_f32_e32 v107, v107, v16
	v_fma_f32 v115, 0x3df6dbef, v55, -v113
	v_fmamk_f32 v116, v54, 0xbf3f9e67, v114
	v_mul_f32_e32 v117, 0x3f7e222b, v38
	v_mul_f32_e32 v118, 0xbf52af12, v40
	v_add_f32_e32 v32, v32, v31
	v_add_f32_e32 v31, v115, v107
	;; [unrolled: 1-line block ×3, first 2 shown]
	v_fmamk_f32 v116, v58, 0x3df6dbef, v117
	v_fma_f32 v119, 0x3f116cb1, v59, -v118
	v_mul_f32_e32 v120, 0xbf52af12, v41
	v_mul_f32_e32 v121, 0x3e750f2a, v69
	;; [unrolled: 1-line block ×3, first 2 shown]
	v_add_f32_e32 v115, v116, v115
	v_add_f32_e32 v31, v119, v31
	v_fmamk_f32 v116, v61, 0x3f116cb1, v120
	v_fma_f32 v119, 0xbf788fa5, v62, -v121
	v_mul_f32_e32 v124, 0x3eedf032, v109
	v_fmac_f32_e32 v30, 0xbf3f9e67, v53
	v_fma_f32 v114, 0xbf3f9e67, v54, -v114
	v_add_f32_e32 v115, v116, v115
	v_add_f32_e32 v31, v119, v31
	v_fmamk_f32 v116, v63, 0xbf788fa5, v122
	v_mul_f32_e32 v119, 0x3eedf032, v110
	v_mul_f32_e32 v107, 0x3f52af12, v112
	v_fma_f32 v125, 0x3f62ad3f, v70, -v124
	v_add_f32_e32 v30, v30, v16
	v_add_f32_e32 v115, v116, v115
	v_fmamk_f32 v116, v71, 0x3f62ad3f, v119
	v_fmac_f32_e32 v113, 0x3df6dbef, v55
	v_add_f32_e32 v114, v114, v17
	v_fma_f32 v117, 0x3df6dbef, v58, -v117
	v_fma_f32 v123, 0x3f116cb1, v83, -v107
	v_add_f32_e32 v115, v116, v115
	v_mul_f32_e32 v116, 0xbf6f5d39, v111
	v_add_f32_e32 v31, v125, v31
	v_add_f32_e32 v30, v113, v30
	v_fmac_f32_e32 v118, 0x3f116cb1, v59
	v_add_f32_e32 v114, v117, v114
	v_fma_f32 v113, 0xbeb58ec6, v82, -v116
	v_fma_f32 v117, 0x3f116cb1, v61, -v120
	v_add_f32_e32 v33, v123, v33
	v_mul_f32_e32 v123, 0xbf6f5d39, v112
	v_add_f32_e32 v118, v118, v30
	v_fmac_f32_e32 v121, 0xbf788fa5, v62
	v_add_f32_e32 v30, v113, v31
	v_add_f32_e32 v113, v117, v114
	v_fma_f32 v114, 0xbf788fa5, v63, -v122
	v_fmamk_f32 v31, v83, 0xbeb58ec6, v123
	v_add_f32_e32 v117, v121, v118
	v_fmac_f32_e32 v124, 0x3f62ad3f, v70
	v_mul_f32_e32 v37, 0xbe750f2a, v37
	v_add_f32_e32 v113, v114, v113
	v_mul_f32_e32 v114, 0xbe750f2a, v36
	v_add_f32_e32 v31, v31, v115
	v_add_f32_e32 v36, v124, v117
	v_fma_f32 v115, 0x3f62ad3f, v71, -v119
	v_fma_f32 v117, 0xbf788fa5, v53, -v37
	v_mul_f32_e32 v39, 0x3eedf032, v39
	v_fmamk_f32 v118, v54, 0xbf788fa5, v114
	v_mul_f32_e32 v38, 0x3eedf032, v38
	v_add_f32_e32 v113, v115, v113
	v_add_f32_e32 v115, v117, v16
	v_fma_f32 v117, 0x3f62ad3f, v55, -v39
	v_add_f32_e32 v118, v118, v17
	v_fmamk_f32 v119, v58, 0x3f62ad3f, v38
	v_mul_f32_e32 v40, 0xbf29c268, v40
	v_mul_f32_e32 v41, 0xbf29c268, v41
	v_fmac_f32_e32 v37, 0xbf788fa5, v53
	v_fma_f32 v114, 0xbf788fa5, v54, -v114
	v_fmac_f32_e32 v116, 0xbeb58ec6, v82
	v_add_f32_e32 v115, v117, v115
	v_add_f32_e32 v117, v119, v118
	v_fma_f32 v118, 0xbf3f9e67, v59, -v40
	v_fmamk_f32 v119, v61, 0xbf3f9e67, v41
	v_mul_f32_e32 v69, 0x3f52af12, v69
	v_add_f32_e32 v37, v37, v16
	v_fmac_f32_e32 v39, 0x3f62ad3f, v55
	v_add_f32_e32 v114, v114, v17
	v_fma_f32 v38, 0x3f62ad3f, v58, -v38
	v_add_f32_e32 v36, v116, v36
	v_add_f32_e32 v115, v118, v115
	;; [unrolled: 1-line block ×3, first 2 shown]
	v_fma_f32 v117, 0x3f116cb1, v62, -v69
	v_mul_f32_e32 v108, 0x3f52af12, v108
	v_add_f32_e32 v37, v39, v37
	v_add_f32_e32 v38, v38, v114
	v_fmac_f32_e32 v40, 0xbf3f9e67, v59
	v_fma_f32 v39, 0xbf3f9e67, v61, -v41
	v_mul_f32_e32 v109, 0xbf6f5d39, v109
	v_add_f32_e32 v115, v117, v115
	v_fmamk_f32 v117, v63, 0x3f116cb1, v108
	v_mul_f32_e32 v110, 0xbf6f5d39, v110
	v_add_f32_e32 v37, v40, v37
	v_add_f32_e32 v38, v39, v38
	v_fmac_f32_e32 v69, 0x3f116cb1, v62
	v_fma_f32 v39, 0x3f116cb1, v63, -v108
	s_clause 0x1
	s_load_dwordx2 s[6:7], s[4:5], 0x20
	s_load_dwordx2 s[2:3], s[4:5], 0x8
	v_fma_f32 v118, 0xbeb58ec6, v70, -v109
	v_add_f32_e32 v41, v117, v116
	v_fmamk_f32 v40, v71, 0xbeb58ec6, v110
	v_mul_f32_e32 v108, 0x3f7e222b, v111
	v_mul_f32_e32 v111, 0x3f7e222b, v112
	v_add_f32_e32 v37, v69, v37
	v_add_f32_e32 v38, v39, v38
	v_fmac_f32_e32 v109, 0xbeb58ec6, v70
	v_fma_f32 v39, 0xbeb58ec6, v71, -v110
	v_fma_f32 v120, 0xbeb58ec6, v83, -v123
	v_add_f32_e32 v114, v118, v115
	v_add_f32_e32 v41, v40, v41
	v_fma_f32 v40, 0x3df6dbef, v82, -v108
	v_fmamk_f32 v69, v83, 0x3df6dbef, v111
	v_add_f32_e32 v109, v109, v37
	v_add_f32_e32 v39, v39, v38
	v_fmac_f32_e32 v108, 0x3df6dbef, v82
	v_fma_f32 v110, 0x3df6dbef, v83, -v111
	v_add_f32_e32 v37, v120, v113
	v_add_f32_e32 v40, v40, v114
	v_add_f32_e32 v41, v69, v41
	v_add_f32_e32 v38, v108, v109
	v_add_f32_e32 v39, v110, v39
	v_mul_lo_u16 v69, v65, 13
	s_waitcnt lgkmcnt(0)
	s_barrier
	buffer_gl0_inv
	s_and_saveexec_b32 s0, vcc_lo
	s_cbranch_execz .LBB0_7
; %bb.6:
	v_mul_f32_e32 v109, 0x3f62ad3f, v54
	v_mul_f32_e32 v111, 0x3f116cb1, v54
	;; [unrolled: 1-line block ×12, first 2 shown]
	v_add_f32_e32 v54, v103, v54
	v_mul_f32_e32 v114, 0x3f116cb1, v55
	v_mul_f32_e32 v116, 0xbeb58ec6, v55
	;; [unrolled: 1-line block ×4, first 2 shown]
	v_add_f32_e32 v54, v54, v17
	v_add_f32_e32 v58, v105, v58
	v_mul_f32_e32 v105, 0x3f62ad3f, v61
	v_sub_f32_e32 v53, v53, v99
	v_sub_f32_e32 v55, v55, v100
	v_mul_f32_e32 v103, 0x3df6dbef, v59
	v_add_f32_e32 v54, v58, v54
	v_add_f32_e32 v58, v106, v105
	;; [unrolled: 1-line block ×3, first 2 shown]
	v_mul_f32_e32 v120, 0x3df6dbef, v61
	v_mul_f32_e32 v121, 0xbf788fa5, v59
	;; [unrolled: 1-line block ×3, first 2 shown]
	v_add_f32_e32 v54, v58, v54
	v_mul_f32_e32 v58, 0x3df6dbef, v63
	v_add_f32_e32 v53, v55, v53
	v_add_f32_e32 v55, v90, v113
	v_mul_f32_e32 v123, 0xbeb58ec6, v59
	v_mul_f32_e32 v61, 0xbeb58ec6, v61
	;; [unrolled: 1-line block ×3, first 2 shown]
	v_add_f32_e32 v58, v102, v58
	v_mul_f32_e32 v102, 0xbf788fa5, v71
	v_add_f32_e32 v91, v91, v119
	v_add_f32_e32 v55, v55, v17
	;; [unrolled: 1-line block ×4, first 2 shown]
	v_mul_f32_e32 v105, 0xbeb58ec6, v62
	v_mul_f32_e32 v106, 0xbeb58ec6, v63
	;; [unrolled: 1-line block ×7, first 2 shown]
	v_add_f32_e32 v54, v58, v54
	v_add_f32_e32 v102, v104, v102
	v_sub_f32_e32 v59, v59, v96
	v_add_f32_e32 v55, v91, v55
	v_mul_f32_e32 v91, 0x3f116cb1, v83
	v_add_f32_e32 v61, v92, v61
	v_add_f32_e32 v19, v25, v19
	;; [unrolled: 1-line block ×3, first 2 shown]
	v_mul_f32_e32 v58, 0xbf3f9e67, v71
	v_mul_f32_e32 v126, 0x3df6dbef, v71
	;; [unrolled: 1-line block ×3, first 2 shown]
	v_add_f32_e32 v53, v59, v53
	v_sub_f32_e32 v62, v62, v97
	v_add_f32_e32 v54, v102, v54
	v_add_f32_e32 v91, v107, v91
	;; [unrolled: 1-line block ×6, first 2 shown]
	v_mul_f32_e32 v113, 0xbf788fa5, v83
	v_mul_f32_e32 v97, 0x3f62ad3f, v83
	;; [unrolled: 1-line block ×3, first 2 shown]
	v_add_f32_e32 v62, v62, v53
	v_add_f32_e32 v53, v91, v54
	;; [unrolled: 1-line block ×6, first 2 shown]
	v_mul_f32_e32 v100, 0xbf3f9e67, v70
	v_mul_f32_e32 v104, 0x3df6dbef, v70
	v_add_f32_e32 v54, v55, v54
	v_add_f32_e32 v55, v95, v83
	;; [unrolled: 1-line block ×4, first 2 shown]
	v_mul_f32_e32 v90, 0x3f116cb1, v70
	v_mul_f32_e32 v70, 0xbf788fa5, v70
	;; [unrolled: 1-line block ×6, first 2 shown]
	v_sub_f32_e32 v82, v112, v87
	v_add_f32_e32 v71, v77, v111
	v_add_f32_e32 v55, v55, v54
	v_sub_f32_e32 v54, v110, v72
	v_add_f32_e32 v26, v44, v109
	v_sub_f32_e32 v21, v108, v43
	v_add_f32_e32 v13, v13, v19
	v_add_f32_e32 v12, v12, v20
	v_sub_f32_e32 v70, v70, v98
	v_add_f32_e32 v61, v82, v16
	v_add_f32_e32 v71, v71, v17
	;; [unrolled: 1-line block ×6, first 2 shown]
	v_sub_f32_e32 v21, v114, v45
	v_add_f32_e32 v13, v15, v13
	v_add_f32_e32 v12, v14, v12
	;; [unrolled: 1-line block ×3, first 2 shown]
	v_sub_f32_e32 v70, v118, v88
	v_add_f32_e32 v77, v80, v117
	v_sub_f32_e32 v73, v116, v73
	v_add_f32_e32 v17, v24, v17
	v_add_f32_e32 v19, v48, v120
	v_add_f32_e32 v16, v21, v16
	v_sub_f32_e32 v20, v103, v47
	v_add_f32_e32 v5, v5, v13
	v_add_f32_e32 v4, v4, v12
	;; [unrolled: 4-line block ×11, first 2 shown]
	v_and_b32_e32 v11, 0xffff, v69
	v_add_f32_e32 v61, v70, v61
	v_sub_f32_e32 v70, v92, v89
	v_add_f32_e32 v71, v72, v71
	v_add_f32_e32 v72, v79, v97
	;; [unrolled: 1-line block ×3, first 2 shown]
	v_sub_f32_e32 v27, v59, v68
	v_sub_f32_e32 v63, v63, v101
	v_add_f32_e32 v5, v8, v12
	v_add_f32_e32 v4, v7, v6
	;; [unrolled: 1-line block ×4, first 2 shown]
	v_add_lshl_u32 v8, v42, v11, 3
	v_add_f32_e32 v54, v70, v61
	v_add_f32_e32 v18, v72, v71
	;; [unrolled: 1-line block ×4, first 2 shown]
	ds_write2_b64 v8, v[6:7], v[4:5] offset1:1
	ds_write2_b64 v8, v[17:18], v[54:55] offset0:2 offset1:3
	ds_write2_b64 v8, v[52:53], v[30:31] offset0:4 offset1:5
	;; [unrolled: 1-line block ×5, first 2 shown]
	ds_write_b64 v8, v[2:3] offset:96
.LBB0_7:
	s_or_b32 exec_lo, exec_lo, s0
	v_add_lshl_u32 v68, v42, v65, 3
	s_waitcnt lgkmcnt(0)
	s_barrier
	buffer_gl0_inv
	v_cmp_gt_u16_e64 s0, 26, v65
	v_add_nc_u32_e32 v4, 0x400, v68
	ds_read2_b64 v[20:23], v68 offset1:91
	ds_read2_b64 v[24:27], v4 offset0:54 offset1:145
	ds_read_b64 v[28:29], v68 offset:2912
	s_and_saveexec_b32 s1, s0
	s_cbranch_execz .LBB0_9
; %bb.8:
	ds_read2_b64 v[4:7], v4 offset0:119 offset1:210
	ds_read2_b64 v[8:11], v68 offset0:65 offset1:156
	ds_read_b64 v[32:33], v68 offset:3432
	s_waitcnt lgkmcnt(2)
	v_mov_b32_e32 v38, v4
	v_mov_b32_e32 v39, v5
	v_mov_b32_e32 v36, v6
	v_mov_b32_e32 v37, v7
	s_waitcnt lgkmcnt(1)
	v_mov_b32_e32 v40, v10
	v_mov_b32_e32 v41, v11
	;; [unrolled: 1-line block ×4, first 2 shown]
.LBB0_9:
	s_or_b32 exec_lo, exec_lo, s1
	v_and_b32_e32 v4, 0xff, v65
	v_mov_b32_e32 v7, 5
	v_mov_b32_e32 v43, 0x41
	v_mul_lo_u16 v4, 0x4f, v4
	v_lshrrev_b16 v44, 10, v4
	v_add_nc_u16 v4, v65, 0x41
	v_mul_lo_u16 v5, v44, 13
	v_and_b32_e32 v6, 0xff, v4
	v_mul_u32_u24_sdwa v44, v44, v43 dst_sel:DWORD dst_unused:UNUSED_PAD src0_sel:WORD_0 src1_sel:DWORD
	v_sub_nc_u16 v45, v65, v5
	v_mul_lo_u16 v5, 0x4f, v6
	v_lshlrev_b32_sdwa v6, v7, v45 dst_sel:DWORD dst_unused:UNUSED_PAD src0_sel:DWORD src1_sel:BYTE_0
	v_lshrrev_b16 v71, 10, v5
	v_add_nc_u32_sdwa v44, v44, v45 dst_sel:DWORD dst_unused:UNUSED_PAD src0_sel:DWORD src1_sel:BYTE_0
	s_clause 0x1
	global_load_dwordx4 v[16:19], v6, s[2:3]
	global_load_dwordx4 v[12:15], v6, s[2:3] offset:16
	v_mul_lo_u16 v5, v71, 13
	v_add_lshl_u32 v73, v42, v44, 3
	v_sub_nc_u16 v70, v4, v5
	v_lshlrev_b32_sdwa v4, v7, v70 dst_sel:DWORD dst_unused:UNUSED_PAD src0_sel:DWORD src1_sel:BYTE_0
	s_clause 0x1
	global_load_dwordx4 v[8:11], v4, s[2:3]
	global_load_dwordx4 v[4:7], v4, s[2:3] offset:16
	s_load_dwordx4 s[4:7], s[6:7], 0x0
	s_waitcnt vmcnt(0) lgkmcnt(0)
	s_barrier
	buffer_gl0_inv
	v_mul_f32_e32 v44, v23, v17
	v_mul_f32_e32 v45, v22, v17
	;; [unrolled: 1-line block ×8, first 2 shown]
	v_fma_f32 v44, v22, v16, -v44
	v_fmac_f32_e32 v45, v23, v16
	v_fma_f32 v46, v24, v18, -v46
	v_fmac_f32_e32 v47, v25, v18
	;; [unrolled: 2-line block ×4, first 2 shown]
	v_mul_f32_e32 v24, v41, v9
	v_mul_f32_e32 v27, v40, v9
	;; [unrolled: 1-line block ×8, first 2 shown]
	v_fma_f32 v29, v40, v8, -v24
	v_fmac_f32_e32 v27, v41, v8
	v_fma_f32 v28, v38, v10, -v26
	v_fmac_f32_e32 v25, v39, v10
	;; [unrolled: 2-line block ×4, first 2 shown]
	v_add_f32_e32 v32, v20, v44
	v_add_f32_e32 v33, v46, v52
	v_sub_f32_e32 v36, v45, v57
	v_sub_f32_e32 v38, v44, v46
	;; [unrolled: 1-line block ×3, first 2 shown]
	v_add_f32_e32 v40, v44, v56
	v_sub_f32_e32 v41, v46, v44
	v_add_f32_e32 v51, v21, v45
	v_sub_f32_e32 v58, v44, v56
	v_sub_f32_e32 v44, v45, v47
	v_add_f32_e32 v61, v45, v57
	v_sub_f32_e32 v45, v47, v45
	v_sub_f32_e32 v62, v53, v57
	;; [unrolled: 1-line block ×4, first 2 shown]
	v_add_f32_e32 v54, v47, v53
	v_sub_f32_e32 v59, v46, v52
	v_sub_f32_e32 v55, v57, v53
	v_add_f32_e32 v32, v32, v46
	v_fma_f32 v48, -0.5, v33, v20
	v_add_f32_e32 v63, v38, v39
	v_fma_f32 v50, -0.5, v40, v20
	;; [unrolled: 2-line block ×3, first 2 shown]
	v_add_f32_e32 v61, v45, v62
	v_add_f32_e32 v38, v28, v26
	v_sub_f32_e32 v39, v29, v28
	v_sub_f32_e32 v45, v24, v26
	v_add_f32_e32 v46, v29, v24
	v_add_f32_e32 v75, v25, v23
	;; [unrolled: 1-line block ×4, first 2 shown]
	v_fma_f32 v49, -0.5, v54, v21
	v_add_f32_e32 v72, v44, v55
	v_sub_f32_e32 v20, v27, v22
	v_sub_f32_e32 v21, v25, v23
	;; [unrolled: 1-line block ×4, first 2 shown]
	v_add_f32_e32 v32, v32, v52
	v_fmamk_f32 v52, v36, 0x3f737871, v48
	v_fmac_f32_e32 v48, 0xbf737871, v36
	v_fmamk_f32 v54, v37, 0xbf737871, v50
	v_fmac_f32_e32 v50, 0x3f737871, v37
	v_add_f32_e32 v33, v33, v53
	v_fma_f32 v44, -0.5, v38, v30
	v_add_f32_e32 v47, v39, v45
	v_fma_f32 v38, -0.5, v46, v30
	v_fma_f32 v45, -0.5, v75, v31
	v_fma_f32 v39, -0.5, v78, v31
	v_sub_f32_e32 v62, v28, v29
	v_sub_f32_e32 v74, v26, v24
	;; [unrolled: 1-line block ×6, first 2 shown]
	v_fmamk_f32 v53, v58, 0xbf737871, v49
	v_add_f32_e32 v56, v32, v56
	v_fmac_f32_e32 v52, 0x3f167918, v37
	v_fmac_f32_e32 v48, 0xbf167918, v37
	;; [unrolled: 1-line block ×4, first 2 shown]
	v_add_f32_e32 v57, v33, v57
	v_fmamk_f32 v32, v20, 0xbf737871, v44
	v_fmamk_f32 v36, v21, 0xbf737871, v38
	v_fmac_f32_e32 v38, 0x3f737871, v21
	v_fmamk_f32 v33, v40, 0x3f737871, v45
	v_fmamk_f32 v37, v41, 0x3f737871, v39
	v_fmac_f32_e32 v39, 0xbf737871, v41
	v_fmamk_f32 v55, v59, 0x3f737871, v51
	v_fmac_f32_e32 v51, 0xbf737871, v59
	v_fmac_f32_e32 v49, 0x3f737871, v58
	v_add_f32_e32 v62, v62, v74
	v_add_f32_e32 v46, v76, v77
	;; [unrolled: 1-line block ×3, first 2 shown]
	v_fmac_f32_e32 v53, 0xbf167918, v59
	v_fmac_f32_e32 v32, 0xbf167918, v21
	;; [unrolled: 1-line block ×24, first 2 shown]
	ds_write2_b64 v73, v[56:57], v[52:53] offset1:13
	ds_write2_b64 v73, v[54:55], v[50:51] offset0:26 offset1:39
	ds_write_b64 v73, v[48:49] offset:416
	s_and_saveexec_b32 s1, s0
	s_cbranch_execz .LBB0_11
; %bb.10:
	v_mul_f32_e32 v20, 0x3f737871, v20
	v_mul_f32_e32 v40, 0x3f737871, v40
	v_add_f32_e32 v27, v31, v27
	v_add_f32_e32 v29, v30, v29
	v_mul_f32_e32 v21, 0x3f167918, v21
	v_mul_f32_e32 v41, 0x3f167918, v41
	v_sub_f32_e32 v31, v45, v40
	v_add_f32_e32 v20, v44, v20
	v_add_f32_e32 v25, v27, v25
	;; [unrolled: 1-line block ×3, first 2 shown]
	v_mul_u32_u24_sdwa v28, v71, v43 dst_sel:DWORD dst_unused:UNUSED_PAD src0_sel:WORD_0 src1_sel:DWORD
	v_mul_f32_e32 v47, 0x3e9e377a, v47
	v_mul_f32_e32 v30, 0x3e9e377a, v46
	v_sub_f32_e32 v29, v31, v41
	v_add_f32_e32 v20, v21, v20
	v_add_f32_e32 v23, v25, v23
	;; [unrolled: 1-line block ×3, first 2 shown]
	v_add_nc_u32_sdwa v26, v28, v70 dst_sel:DWORD dst_unused:UNUSED_PAD src0_sel:DWORD src1_sel:BYTE_0
	v_add_f32_e32 v21, v30, v29
	v_add_f32_e32 v20, v47, v20
	;; [unrolled: 1-line block ×4, first 2 shown]
	v_add_lshl_u32 v24, v42, v26, 3
	ds_write2_b64 v24, v[22:23], v[20:21] offset1:13
	ds_write2_b64 v24, v[36:37], v[38:39] offset0:26 offset1:39
	ds_write_b64 v24, v[32:33] offset:416
.LBB0_11:
	s_or_b32 exec_lo, exec_lo, s1
	v_mad_u64_u32 v[20:21], null, v65, 48, s[2:3]
	s_waitcnt lgkmcnt(0)
	s_barrier
	buffer_gl0_inv
	v_add_nc_u32_e32 v44, 0x400, v68
	v_add_nc_u32_e32 v48, 0x800, v68
	v_lshl_add_u32 v72, v65, 3, v67
	s_clause 0x2
	global_load_dwordx4 v[28:31], v[20:21], off offset:416
	global_load_dwordx4 v[24:27], v[20:21], off offset:432
	;; [unrolled: 1-line block ×3, first 2 shown]
	ds_read2_b64 v[40:43], v68 offset0:65 offset1:130
	ds_read2_b64 v[44:47], v44 offset0:67 offset1:132
	;; [unrolled: 1-line block ×3, first 2 shown]
	ds_read_b64 v[54:55], v68
	v_add_nc_u32_e32 v52, 0x400, v72
	v_add_nc_u32_e32 v53, 0x800, v72
	s_waitcnt vmcnt(2) lgkmcnt(3)
	v_mul_f32_e32 v56, v41, v29
	v_mul_f32_e32 v57, v40, v29
	;; [unrolled: 1-line block ×4, first 2 shown]
	s_waitcnt vmcnt(1) lgkmcnt(2)
	v_mul_f32_e32 v61, v45, v25
	v_mul_f32_e32 v62, v44, v25
	s_waitcnt vmcnt(0) lgkmcnt(1)
	v_mul_f32_e32 v74, v49, v21
	v_mul_f32_e32 v75, v48, v21
	;; [unrolled: 1-line block ×6, first 2 shown]
	v_fma_f32 v40, v40, v28, -v56
	v_fmac_f32_e32 v57, v41, v28
	v_fma_f32 v41, v42, v30, -v58
	v_fmac_f32_e32 v59, v43, v30
	;; [unrolled: 2-line block ×6, first 2 shown]
	v_add_f32_e32 v46, v40, v44
	v_add_f32_e32 v47, v57, v77
	;; [unrolled: 1-line block ×4, first 2 shown]
	v_sub_f32_e32 v40, v40, v44
	v_sub_f32_e32 v44, v57, v77
	;; [unrolled: 1-line block ×4, first 2 shown]
	v_add_f32_e32 v50, v42, v43
	v_add_f32_e32 v51, v62, v64
	v_sub_f32_e32 v42, v43, v42
	v_sub_f32_e32 v43, v64, v62
	v_add_f32_e32 v56, v48, v46
	v_add_f32_e32 v57, v49, v47
	v_sub_f32_e32 v58, v48, v46
	v_sub_f32_e32 v59, v49, v47
	;; [unrolled: 1-line block ×6, first 2 shown]
	v_add_f32_e32 v61, v42, v41
	v_add_f32_e32 v62, v43, v45
	v_sub_f32_e32 v63, v42, v41
	v_sub_f32_e32 v64, v43, v45
	v_sub_f32_e32 v41, v41, v40
	v_sub_f32_e32 v45, v45, v44
	v_add_f32_e32 v50, v50, v56
	v_add_f32_e32 v51, v51, v57
	v_sub_f32_e32 v42, v40, v42
	v_sub_f32_e32 v43, v44, v43
	v_add_f32_e32 v40, v61, v40
	v_add_f32_e32 v44, v62, v44
	v_mul_f32_e32 v46, 0x3f4a47b2, v46
	v_mul_f32_e32 v47, 0x3f4a47b2, v47
	;; [unrolled: 1-line block ×8, first 2 shown]
	s_waitcnt lgkmcnt(0)
	v_add_f32_e32 v61, v54, v50
	v_add_f32_e32 v62, v55, v51
	v_fmamk_f32 v48, v48, 0x3d64c772, v46
	v_fmamk_f32 v49, v49, 0x3d64c772, v47
	v_fma_f32 v54, 0x3f3bfb3b, v58, -v56
	v_fma_f32 v55, 0x3f3bfb3b, v59, -v57
	v_fma_f32 v46, 0xbf3bfb3b, v58, -v46
	v_fma_f32 v47, 0xbf3bfb3b, v59, -v47
	v_fmamk_f32 v56, v42, 0x3eae86e6, v63
	v_fmamk_f32 v57, v43, 0x3eae86e6, v64
	v_fma_f32 v41, 0x3f5ff5aa, v41, -v63
	v_fma_f32 v58, 0x3f5ff5aa, v45, -v64
	;; [unrolled: 1-line block ×4, first 2 shown]
	v_fmamk_f32 v45, v50, 0xbf955555, v61
	v_fmamk_f32 v50, v51, 0xbf955555, v62
	v_fmac_f32_e32 v56, 0x3ee1c552, v40
	v_fmac_f32_e32 v57, 0x3ee1c552, v44
	;; [unrolled: 1-line block ×6, first 2 shown]
	v_add_f32_e32 v59, v48, v45
	v_add_f32_e32 v63, v49, v50
	;; [unrolled: 1-line block ×7, first 2 shown]
	v_sub_f32_e32 v49, v63, v56
	v_add_f32_e32 v50, v43, v54
	v_sub_f32_e32 v51, v64, v42
	v_sub_f32_e32 v44, v40, v58
	v_add_f32_e32 v45, v41, v47
	v_add_f32_e32 v46, v58, v40
	v_sub_f32_e32 v47, v47, v41
	v_sub_f32_e32 v40, v54, v43
	v_add_f32_e32 v41, v42, v64
	v_sub_f32_e32 v42, v59, v57
	v_add_f32_e32 v43, v56, v63
	ds_write_b64 v72, v[61:62]
	ds_write2_b64 v72, v[48:49], v[50:51] offset0:65 offset1:130
	ds_write2_b64 v52, v[44:45], v[46:47] offset0:67 offset1:132
	;; [unrolled: 1-line block ×3, first 2 shown]
	s_waitcnt lgkmcnt(0)
	s_barrier
	buffer_gl0_inv
	s_and_saveexec_b32 s2, vcc_lo
	s_cbranch_execz .LBB0_13
; %bb.12:
	v_add_co_u32 v76, s1, s14, v66
	v_add_co_ci_u32_e64 v77, null, s15, 0, s1
	v_add_co_u32 v54, s1, 0x800, v76
	v_add_co_ci_u32_e64 v55, s1, 0, v77, s1
	v_add_co_u32 v56, s1, 0xe38, v76
	v_add_co_ci_u32_e64 v57, s1, 0, v77, s1
	global_load_dwordx2 v[54:55], v[54:55], off offset:1592
	v_add_co_u32 v74, s1, 0x1000, v76
	v_add_co_ci_u32_e64 v75, s1, 0, v77, s1
	s_clause 0x1
	global_load_dwordx2 v[58:59], v[56:57], off offset:280
	global_load_dwordx2 v[63:64], v[56:57], off offset:560
	v_add_co_u32 v76, s1, 0x1800, v76
	s_clause 0x3
	global_load_dwordx2 v[94:95], v[56:57], off offset:840
	global_load_dwordx2 v[96:97], v[56:57], off offset:1120
	global_load_dwordx2 v[98:99], v[56:57], off offset:1400
	global_load_dwordx2 v[100:101], v[56:57], off offset:1680
	v_add_co_ci_u32_e64 v77, s1, 0, v77, s1
	s_clause 0x5
	global_load_dwordx2 v[102:103], v[56:57], off offset:1960
	global_load_dwordx2 v[104:105], v[74:75], off offset:1784
	;; [unrolled: 1-line block ×6, first 2 shown]
	ds_read_b64 v[56:57], v72
	s_waitcnt vmcnt(12) lgkmcnt(0)
	v_mul_f32_e32 v74, v57, v55
	v_mul_f32_e32 v75, v56, v55
	v_fma_f32 v74, v56, v54, -v74
	v_fmac_f32_e32 v75, v57, v54
	ds_write_b64 v72, v[74:75]
	ds_read2_b64 v[54:57], v72 offset0:35 offset1:70
	ds_read2_b64 v[74:77], v72 offset0:105 offset1:140
	;; [unrolled: 1-line block ×6, first 2 shown]
	s_waitcnt vmcnt(11) lgkmcnt(5)
	v_mul_f32_e32 v115, v55, v59
	v_mul_f32_e32 v114, v54, v59
	s_waitcnt vmcnt(10)
	v_mul_f32_e32 v116, v57, v64
	v_mul_f32_e32 v59, v56, v64
	s_waitcnt vmcnt(9) lgkmcnt(4)
	v_mul_f32_e32 v117, v75, v95
	v_mul_f32_e32 v64, v74, v95
	s_waitcnt vmcnt(8)
	v_mul_f32_e32 v118, v77, v97
	v_mul_f32_e32 v95, v76, v97
	;; [unrolled: 6-line block ×6, first 2 shown]
	v_fma_f32 v113, v54, v58, -v115
	v_fmac_f32_e32 v114, v55, v58
	v_fma_f32 v58, v56, v63, -v116
	v_fmac_f32_e32 v59, v57, v63
	;; [unrolled: 2-line block ×12, first 2 shown]
	ds_write2_b64 v72, v[113:114], v[58:59] offset0:35 offset1:70
	ds_write2_b64 v72, v[63:64], v[94:95] offset0:105 offset1:140
	;; [unrolled: 1-line block ×6, first 2 shown]
.LBB0_13:
	s_or_b32 exec_lo, exec_lo, s2
	s_waitcnt lgkmcnt(0)
	s_barrier
	buffer_gl0_inv
	s_and_saveexec_b32 s1, vcc_lo
	s_cbranch_execz .LBB0_15
; %bb.14:
	v_add_nc_u32_e32 v0, 0x800, v72
	v_add_nc_u32_e32 v36, 0x400, v72
	ds_read2_b64 v[32:35], v0 offset0:59 offset1:94
	ds_read2_b64 v[0:3], v0 offset0:129 offset1:164
	ds_read_b64 v[61:62], v72
	ds_read2_b64 v[48:51], v72 offset0:35 offset1:70
	ds_read2_b64 v[44:47], v72 offset0:105 offset1:140
	;; [unrolled: 1-line block ×4, first 2 shown]
.LBB0_15:
	s_or_b32 exec_lo, exec_lo, s1
	s_waitcnt lgkmcnt(3)
	v_sub_f32_e32 v82, v49, v3
	v_add_f32_e32 v86, v3, v49
	v_add_f32_e32 v74, v2, v48
	v_sub_f32_e32 v84, v51, v1
	v_sub_f32_e32 v75, v48, v2
	v_mul_f32_e32 v96, 0xbf6f5d39, v82
	v_mul_f32_e32 v98, 0xbeb58ec6, v86
	;; [unrolled: 1-line block ×3, first 2 shown]
	v_add_f32_e32 v90, v1, v51
	v_add_f32_e32 v76, v0, v50
	v_fma_f32 v54, 0xbeb58ec6, v74, -v96
	v_mul_f32_e32 v100, 0x3f29c268, v84
	v_mul_f32_e32 v53, 0xbf3f9e67, v86
	v_fmamk_f32 v55, v75, 0xbf6f5d39, v98
	v_fmamk_f32 v56, v74, 0xbf3f9e67, v52
	v_mul_f32_e32 v57, 0xbe750f2a, v82
	v_add_f32_e32 v54, v61, v54
	v_fma_f32 v52, 0xbf3f9e67, v74, -v52
	v_sub_f32_e32 v77, v50, v0
	v_mul_f32_e32 v101, 0xbf3f9e67, v90
	v_mul_f32_e32 v78, 0x3f7e222b, v84
	v_fma_f32 v79, 0xbf3f9e67, v76, -v100
	v_mul_f32_e32 v58, 0xbf788fa5, v86
	v_add_f32_e32 v55, v62, v55
	v_add_f32_e32 v56, v61, v56
	v_fmamk_f32 v59, v75, 0x3f29c268, v53
	v_fmamk_f32 v63, v74, 0xbf788fa5, v57
	v_add_f32_e32 v52, v61, v52
	v_fmamk_f32 v80, v77, 0x3f29c268, v101
	v_fmamk_f32 v81, v76, 0x3df6dbef, v78
	v_mul_f32_e32 v83, 0x3df6dbef, v90
	v_add_f32_e32 v54, v79, v54
	v_mul_f32_e32 v79, 0x3eedf032, v84
	v_fma_f32 v78, 0x3df6dbef, v76, -v78
	s_waitcnt lgkmcnt(2)
	v_sub_f32_e32 v89, v45, v35
	v_fmamk_f32 v64, v75, 0x3e750f2a, v58
	v_add_f32_e32 v59, v62, v59
	v_add_f32_e32 v63, v61, v63
	;; [unrolled: 1-line block ×4, first 2 shown]
	v_fmamk_f32 v80, v77, 0xbf7e222b, v83
	v_mul_f32_e32 v81, 0x3f62ad3f, v90
	v_fmamk_f32 v85, v76, 0x3f62ad3f, v79
	v_add_f32_e32 v52, v78, v52
	v_add_f32_e32 v78, v34, v44
	v_mul_f32_e32 v102, 0x3eedf032, v89
	v_fmac_f32_e32 v53, 0xbf29c268, v75
	v_add_f32_e32 v64, v62, v64
	v_fma_f32 v57, 0xbf788fa5, v74, -v57
	v_add_f32_e32 v59, v80, v59
	v_fmamk_f32 v80, v77, 0xbeedf032, v81
	v_add_f32_e32 v63, v85, v63
	v_add_f32_e32 v92, v35, v45
	v_fma_f32 v85, 0x3f62ad3f, v78, -v102
	v_add_f32_e32 v53, v62, v53
	v_fmac_f32_e32 v58, 0xbe750f2a, v75
	v_add_f32_e32 v57, v61, v57
	v_fmac_f32_e32 v83, 0x3f7e222b, v77
	v_add_f32_e32 v64, v80, v64
	v_fma_f32 v80, 0x3f62ad3f, v76, -v79
	v_sub_f32_e32 v79, v44, v34
	v_mul_f32_e32 v103, 0x3f62ad3f, v92
	v_add_f32_e32 v54, v85, v54
	v_mul_f32_e32 v85, 0xbf3f9e67, v92
	v_add_f32_e32 v58, v62, v58
	v_add_f32_e32 v53, v83, v53
	v_mul_f32_e32 v83, 0xbf52af12, v89
	v_fmac_f32_e32 v81, 0x3eedf032, v77
	v_add_f32_e32 v57, v80, v57
	v_fmamk_f32 v80, v79, 0x3eedf032, v103
	v_fmamk_f32 v91, v79, 0x3f29c268, v85
	;; [unrolled: 1-line block ×3, first 2 shown]
	v_add_f32_e32 v58, v81, v58
	v_mul_f32_e32 v81, 0x3f116cb1, v92
	v_add_f32_e32 v55, v80, v55
	v_mul_f32_e32 v80, 0xbf29c268, v89
	v_fma_f32 v83, 0x3f116cb1, v78, -v83
	v_add_f32_e32 v64, v91, v64
	v_sub_f32_e32 v91, v47, v33
	v_add_f32_e32 v56, v87, v56
	v_fmamk_f32 v87, v79, 0x3f52af12, v81
	v_fmac_f32_e32 v81, 0xbf52af12, v79
	v_fmamk_f32 v88, v78, 0xbf3f9e67, v80
	v_add_f32_e32 v52, v83, v52
	v_add_f32_e32 v93, v33, v47
	v_fma_f32 v83, 0xbf3f9e67, v78, -v80
	v_add_f32_e32 v80, v32, v46
	v_mul_f32_e32 v104, 0xbf7e222b, v91
	v_add_f32_e32 v59, v87, v59
	v_add_f32_e32 v53, v81, v53
	v_sub_f32_e32 v81, v46, v32
	v_mul_f32_e32 v105, 0x3df6dbef, v93
	v_mul_f32_e32 v87, 0x3e750f2a, v91
	v_fmac_f32_e32 v85, 0xbf29c268, v79
	v_add_f32_e32 v57, v83, v57
	v_fma_f32 v83, 0x3df6dbef, v80, -v104
	v_add_f32_e32 v63, v88, v63
	v_fmamk_f32 v88, v81, 0xbf7e222b, v105
	v_fmamk_f32 v94, v80, 0xbf788fa5, v87
	v_add_f32_e32 v58, v85, v58
	v_mul_f32_e32 v85, 0xbf788fa5, v93
	v_add_f32_e32 v54, v83, v54
	v_mul_f32_e32 v83, 0x3f52af12, v91
	v_add_f32_e32 v55, v88, v55
	v_add_f32_e32 v56, v94, v56
	v_fmamk_f32 v88, v81, 0xbe750f2a, v85
	v_mul_f32_e32 v97, 0x3f116cb1, v93
	v_fma_f32 v87, 0xbf788fa5, v80, -v87
	v_fmac_f32_e32 v85, 0x3e750f2a, v81
	v_fmamk_f32 v94, v80, 0x3f116cb1, v83
	s_waitcnt lgkmcnt(0)
	v_add_f32_e32 v95, v39, v41
	v_add_f32_e32 v59, v88, v59
	v_fmamk_f32 v88, v81, 0xbf52af12, v97
	v_add_f32_e32 v52, v87, v52
	v_add_f32_e32 v53, v85, v53
	;; [unrolled: 1-line block ×3, first 2 shown]
	v_sub_f32_e32 v94, v41, v39
	v_fma_f32 v87, 0x3f116cb1, v80, -v83
	v_sub_f32_e32 v85, v40, v38
	v_mul_f32_e32 v107, 0xbf788fa5, v95
	v_add_f32_e32 v64, v88, v64
	v_add_f32_e32 v83, v38, v40
	v_mul_f32_e32 v106, 0x3e750f2a, v94
	v_mul_f32_e32 v88, 0x3eedf032, v94
	v_fmac_f32_e32 v97, 0x3f52af12, v81
	v_add_f32_e32 v57, v87, v57
	v_fmamk_f32 v87, v85, 0x3e750f2a, v107
	v_fma_f32 v99, 0xbf788fa5, v83, -v106
	v_fmamk_f32 v108, v83, 0x3f62ad3f, v88
	v_add_f32_e32 v58, v97, v58
	v_mul_f32_e32 v97, 0x3f62ad3f, v95
	v_add_f32_e32 v55, v87, v55
	v_mul_f32_e32 v87, 0xbf6f5d39, v94
	v_add_f32_e32 v54, v99, v54
	v_add_f32_e32 v56, v108, v56
	v_mul_f32_e32 v110, 0xbeb58ec6, v95
	v_fmamk_f32 v99, v85, 0xbeedf032, v97
	v_fmac_f32_e32 v97, 0x3eedf032, v85
	v_fmamk_f32 v108, v83, 0xbeb58ec6, v87
	v_fma_f32 v88, 0x3f62ad3f, v83, -v88
	v_fmamk_f32 v109, v85, 0x3f6f5d39, v110
	v_add_f32_e32 v59, v99, v59
	v_add_f32_e32 v53, v97, v53
	;; [unrolled: 1-line block ×3, first 2 shown]
	v_sub_f32_e32 v97, v43, v37
	v_add_f32_e32 v99, v37, v43
	v_fma_f32 v63, 0xbeb58ec6, v83, -v87
	v_add_f32_e32 v52, v88, v52
	v_add_f32_e32 v112, v109, v64
	;; [unrolled: 1-line block ×3, first 2 shown]
	v_sub_f32_e32 v88, v42, v36
	v_mul_f32_e32 v108, 0x3f52af12, v97
	v_mul_f32_e32 v109, 0x3f116cb1, v99
	v_add_f32_e32 v113, v63, v57
	v_fmac_f32_e32 v110, 0xbf6f5d39, v85
	v_mul_f32_e32 v57, 0xbf6f5d39, v97
	v_fma_f32 v63, 0x3f116cb1, v87, -v108
	v_fmamk_f32 v64, v88, 0x3f52af12, v109
	v_mul_f32_e32 v114, 0xbeb58ec6, v99
	v_add_f32_e32 v110, v110, v58
	v_fmamk_f32 v58, v87, 0xbeb58ec6, v57
	v_add_f32_e32 v54, v63, v54
	v_add_f32_e32 v55, v64, v55
	v_fmamk_f32 v64, v88, 0x3f6f5d39, v114
	v_fma_f32 v57, 0xbeb58ec6, v87, -v57
	v_add_f32_e32 v63, v58, v56
	v_mul_f32_e32 v56, 0x3f7e222b, v97
	v_mul_f32_e32 v115, 0x3df6dbef, v99
	v_add_f32_e32 v64, v64, v59
	v_add_f32_e32 v52, v57, v52
	v_fmac_f32_e32 v114, 0xbf6f5d39, v88
	v_fmamk_f32 v57, v87, 0x3df6dbef, v56
	v_fmamk_f32 v58, v88, 0xbf7e222b, v115
	v_fma_f32 v59, 0x3df6dbef, v87, -v56
	v_fmac_f32_e32 v115, 0x3f7e222b, v88
	v_add_f32_e32 v53, v114, v53
	v_add_f32_e32 v56, v57, v111
	;; [unrolled: 1-line block ×5, first 2 shown]
	s_barrier
	buffer_gl0_inv
	s_and_saveexec_b32 s1, vcc_lo
	s_cbranch_execz .LBB0_17
; %bb.16:
	v_mul_f32_e32 v110, 0xbf6f5d39, v75
	v_mul_f32_e32 v113, 0x3f29c268, v77
	;; [unrolled: 1-line block ×5, first 2 shown]
	v_sub_f32_e32 v98, v98, v110
	v_mul_f32_e32 v110, 0x3eedf032, v79
	v_sub_f32_e32 v101, v101, v113
	v_add_f32_e32 v96, v111, v96
	v_add_f32_e32 v49, v49, v62
	;; [unrolled: 1-line block ×3, first 2 shown]
	v_sub_f32_e32 v103, v103, v110
	v_mul_f32_e32 v114, 0x3f62ad3f, v78
	v_mul_f32_e32 v117, 0x3e750f2a, v85
	v_add_f32_e32 v100, v112, v100
	v_add_f32_e32 v98, v101, v98
	v_sub_f32_e32 v101, v105, v116
	v_add_f32_e32 v96, v61, v96
	v_add_f32_e32 v49, v51, v49
	;; [unrolled: 1-line block ×4, first 2 shown]
	v_mul_f32_e32 v115, 0x3df6dbef, v80
	v_mul_f32_e32 v103, 0x3f52af12, v88
	v_sub_f32_e32 v105, v107, v117
	v_add_f32_e32 v102, v114, v102
	v_add_f32_e32 v96, v100, v96
	;; [unrolled: 1-line block ×3, first 2 shown]
	v_mul_f32_e32 v107, 0x3df6dbef, v86
	v_add_f32_e32 v45, v45, v49
	v_add_f32_e32 v48, v50, v48
	v_mul_f32_e32 v113, 0xbf788fa5, v83
	v_sub_f32_e32 v100, v109, v103
	v_add_f32_e32 v101, v115, v104
	v_add_f32_e32 v96, v102, v96
	;; [unrolled: 1-line block ×3, first 2 shown]
	v_fmamk_f32 v102, v75, 0x3f7e222b, v107
	v_mul_f32_e32 v109, 0xbf788fa5, v90
	v_add_f32_e32 v45, v47, v45
	v_add_f32_e32 v44, v44, v48
	v_mul_f32_e32 v110, 0x3f116cb1, v87
	v_add_f32_e32 v103, v113, v106
	v_add_f32_e32 v96, v101, v96
	v_add_f32_e32 v101, v100, v98
	v_add_f32_e32 v98, v62, v102
	v_fmamk_f32 v100, v77, 0x3e750f2a, v109
	v_mul_f32_e32 v106, 0xbeb58ec6, v92
	v_add_f32_e32 v41, v41, v45
	v_add_f32_e32 v44, v46, v44
	;; [unrolled: 1-line block ×4, first 2 shown]
	v_mul_f32_e32 v108, 0xbf7e222b, v82
	v_add_f32_e32 v98, v100, v98
	v_fmamk_f32 v103, v79, 0xbf6f5d39, v106
	v_mul_f32_e32 v110, 0x3f62ad3f, v93
	v_add_f32_e32 v41, v43, v41
	v_add_f32_e32 v40, v40, v44
	v_add_f32_e32 v100, v102, v96
	v_fmamk_f32 v96, v74, 0x3df6dbef, v108
	v_mul_f32_e32 v111, 0xbe750f2a, v84
	v_add_f32_e32 v98, v103, v98
	v_fmamk_f32 v102, v81, 0xbeedf032, v110
	v_mul_f32_e32 v112, 0x3f116cb1, v95
	v_add_f32_e32 v37, v37, v41
	v_add_f32_e32 v40, v42, v40
	v_add_f32_e32 v96, v61, v96
	v_fmamk_f32 v103, v76, 0xbf788fa5, v111
	;; [unrolled: 8-line block ×4, first 2 shown]
	v_mul_f32_e32 v117, 0xbf52af12, v94
	v_add_f32_e32 v103, v102, v98
	v_fmamk_f32 v98, v75, 0x3f52af12, v116
	v_mul_f32_e32 v118, 0xbeb58ec6, v90
	v_mul_f32_e32 v49, 0xbeedf032, v82
	v_add_f32_e32 v33, v35, v33
	v_add_f32_e32 v32, v32, v37
	v_fmac_f32_e32 v107, 0xbf7e222b, v75
	v_add_f32_e32 v96, v104, v96
	v_fmamk_f32 v102, v83, 0x3f116cb1, v117
	v_mul_f32_e32 v119, 0xbf29c268, v97
	v_add_f32_e32 v98, v62, v98
	v_fmamk_f32 v104, v77, 0x3f6f5d39, v118
	v_mul_f32_e32 v120, 0xbf788fa5, v92
	v_fmamk_f32 v47, v74, 0x3f62ad3f, v49
	v_mul_f32_e32 v48, 0xbf52af12, v84
	v_add_f32_e32 v1, v1, v33
	v_add_f32_e32 v32, v34, v32
	;; [unrolled: 1-line block ×3, first 2 shown]
	v_fmac_f32_e32 v109, 0xbe750f2a, v77
	v_fma_f32 v34, 0x3df6dbef, v74, -v108
	v_add_f32_e32 v96, v102, v96
	v_fmamk_f32 v102, v87, 0xbf3f9e67, v119
	v_mul_f32_e32 v121, 0xbf52af12, v82
	v_add_f32_e32 v98, v104, v98
	v_fmamk_f32 v104, v79, 0x3e750f2a, v120
	v_mul_f32_e32 v122, 0xbf3f9e67, v93
	;; [unrolled: 3-line block ×3, first 2 shown]
	v_add_f32_e32 v1, v3, v1
	v_add_f32_e32 v0, v0, v32
	;; [unrolled: 1-line block ×3, first 2 shown]
	v_fmac_f32_e32 v106, 0x3f6f5d39, v79
	v_add_f32_e32 v32, v61, v34
	v_fma_f32 v33, 0xbf788fa5, v76, -v111
	v_fmac_f32_e32 v116, 0xbf52af12, v75
	v_add_f32_e32 v102, v102, v96
	v_fmamk_f32 v96, v74, 0x3f116cb1, v121
	v_mul_f32_e32 v123, 0xbf6f5d39, v84
	v_add_f32_e32 v98, v104, v98
	v_fmamk_f32 v104, v81, 0xbf29c268, v122
	v_mul_f32_e32 v124, 0x3df6dbef, v95
	;; [unrolled: 3-line block ×3, first 2 shown]
	v_add_f32_e32 v0, v2, v0
	v_add_f32_e32 v2, v106, v3
	v_fmac_f32_e32 v110, 0x3eedf032, v81
	v_add_f32_e32 v3, v33, v32
	v_fma_f32 v32, 0xbeb58ec6, v78, -v113
	v_add_f32_e32 v33, v62, v116
	v_fmac_f32_e32 v118, 0xbf6f5d39, v77
	v_add_f32_e32 v96, v61, v96
	v_fmamk_f32 v105, v76, 0xbeb58ec6, v123
	v_mul_f32_e32 v125, 0xbe750f2a, v89
	v_add_f32_e32 v98, v104, v98
	v_fmamk_f32 v104, v85, 0xbf7e222b, v124
	v_mul_f32_e32 v126, 0x3f62ad3f, v99
	;; [unrolled: 3-line block ×3, first 2 shown]
	v_add_f32_e32 v2, v110, v2
	v_fmac_f32_e32 v112, 0xbf52af12, v85
	v_add_f32_e32 v3, v32, v3
	v_fma_f32 v32, 0x3f62ad3f, v80, -v115
	v_add_f32_e32 v33, v118, v33
	v_fmac_f32_e32 v120, 0xbe750f2a, v79
	v_add_f32_e32 v96, v105, v96
	v_fmamk_f32 v105, v78, 0xbf788fa5, v125
	v_mul_f32_e32 v127, 0x3f29c268, v91
	v_add_f32_e32 v98, v104, v98
	v_fmamk_f32 v104, v88, 0xbeedf032, v126
	v_mul_f32_e32 v86, 0x3f62ad3f, v86
	v_add_f32_e32 v38, v40, v44
	v_fmamk_f32 v39, v83, 0xbf3f9e67, v45
	v_mul_f32_e32 v40, 0xbe750f2a, v97
	v_add_f32_e32 v2, v112, v2
	v_fmac_f32_e32 v114, 0xbf29c268, v88
	v_add_f32_e32 v32, v32, v3
	v_fma_f32 v34, 0x3f116cb1, v83, -v117
	v_add_f32_e32 v33, v120, v33
	v_fmac_f32_e32 v122, 0x3f29c268, v81
	v_add_f32_e32 v96, v105, v96
	v_fmamk_f32 v128, v80, 0xbf3f9e67, v127
	v_mul_f32_e32 v129, 0x3f7e222b, v94
	v_add_f32_e32 v105, v104, v98
	v_fmamk_f32 v98, v75, 0x3eedf032, v86
	v_mul_f32_e32 v90, 0x3f116cb1, v90
	v_add_f32_e32 v35, v39, v38
	v_fmamk_f32 v37, v87, 0xbf788fa5, v40
	v_add_f32_e32 v3, v114, v2
	v_fma_f32 v2, 0x3f116cb1, v74, -v121
	v_add_f32_e32 v32, v34, v32
	v_fma_f32 v34, 0xbf3f9e67, v87, -v119
	v_add_f32_e32 v33, v122, v33
	v_fmac_f32_e32 v124, 0x3f7e222b, v85
	v_add_f32_e32 v96, v128, v96
	v_fmamk_f32 v104, v83, 0x3df6dbef, v129
	v_mul_f32_e32 v128, 0x3eedf032, v97
	v_add_f32_e32 v98, v62, v98
	v_fmamk_f32 v130, v77, 0x3f52af12, v90
	v_mul_f32_e32 v92, 0x3df6dbef, v92
	v_add_f32_e32 v35, v37, v35
	v_add_f32_e32 v37, v61, v2
	v_fma_f32 v38, 0xbeb58ec6, v76, -v123
	v_add_f32_e32 v2, v34, v32
	v_fmac_f32_e32 v86, 0xbeedf032, v75
	v_add_f32_e32 v32, v124, v33
	v_fma_f32 v33, 0x3f62ad3f, v74, -v49
	v_add_f32_e32 v96, v104, v96
	v_fmamk_f32 v104, v87, 0x3f62ad3f, v128
	v_add_f32_e32 v98, v130, v98
	v_fmamk_f32 v130, v79, 0x3f7e222b, v92
	v_mul_f32_e32 v93, 0xbeb58ec6, v93
	v_add_f32_e32 v34, v38, v37
	v_fma_f32 v37, 0xbf788fa5, v78, -v125
	v_add_f32_e32 v38, v62, v86
	v_fmac_f32_e32 v90, 0xbf52af12, v77
	v_add_f32_e32 v33, v61, v33
	v_fma_f32 v39, 0x3f116cb1, v76, -v48
	v_add_f32_e32 v104, v104, v96
	v_add_f32_e32 v51, v130, v98
	v_fmamk_f32 v96, v81, 0x3f6f5d39, v93
	v_mul_f32_e32 v95, 0xbf3f9e67, v95
	v_add_f32_e32 v34, v37, v34
	v_fma_f32 v37, 0xbf3f9e67, v80, -v127
	v_add_f32_e32 v38, v90, v38
	v_fmac_f32_e32 v92, 0xbf7e222b, v79
	v_add_f32_e32 v33, v39, v33
	v_fma_f32 v39, 0x3df6dbef, v78, -v47
	v_add_f32_e32 v50, v96, v51
	v_fmamk_f32 v51, v85, 0x3f29c268, v95
	v_mul_f32_e32 v43, 0xbf788fa5, v99
	v_add_f32_e32 v34, v37, v34
	v_fma_f32 v37, 0x3df6dbef, v83, -v129
	v_add_f32_e32 v38, v92, v38
	v_fmac_f32_e32 v93, 0xbf6f5d39, v81
	v_add_f32_e32 v33, v39, v33
	v_fma_f32 v39, 0xbeb58ec6, v80, -v41
	v_add_f32_e32 v50, v51, v50
	v_fmamk_f32 v42, v88, 0x3e750f2a, v43
	v_add_f32_e32 v34, v37, v34
	v_add_f32_e32 v37, v93, v38
	v_fmac_f32_e32 v95, 0xbf29c268, v85
	v_add_f32_e32 v33, v39, v33
	v_fma_f32 v38, 0xbf3f9e67, v83, -v45
	v_and_b32_e32 v41, 0xffff, v69
	v_add_f32_e32 v36, v42, v50
	v_fmac_f32_e32 v126, 0x3eedf032, v88
	v_fma_f32 v39, 0x3f62ad3f, v87, -v128
	v_add_f32_e32 v37, v95, v37
	v_fmac_f32_e32 v43, 0xbe750f2a, v88
	v_add_f32_e32 v42, v38, v33
	v_fma_f32 v40, 0xbf788fa5, v87, -v40
	v_lshl_add_u32 v41, v41, 3, v67
	v_add_f32_e32 v33, v126, v32
	v_add_f32_e32 v32, v39, v34
	;; [unrolled: 1-line block ×4, first 2 shown]
	ds_write2_b64 v41, v[0:1], v[35:36] offset1:1
	ds_write2_b64 v41, v[104:105], v[102:103] offset0:2 offset1:3
	ds_write2_b64 v41, v[100:101], v[63:64] offset0:4 offset1:5
	;; [unrolled: 1-line block ×5, first 2 shown]
	ds_write_b64 v41, v[37:38] offset:96
.LBB0_17:
	s_or_b32 exec_lo, exec_lo, s1
	v_add_nc_u32_e32 v32, 0x400, v68
	s_waitcnt lgkmcnt(0)
	s_barrier
	buffer_gl0_inv
	ds_read2_b64 v[0:3], v68 offset1:91
	ds_read2_b64 v[32:35], v32 offset0:54 offset1:145
	ds_read_b64 v[36:37], v68 offset:2912
	s_and_saveexec_b32 s1, s0
	s_cbranch_execz .LBB0_19
; %bb.18:
	v_add_nc_u32_e32 v38, 0x800, v68
	ds_read_b64 v[63:64], v68 offset:520
	ds_read2_b64 v[56:59], v68 offset0:156 offset1:247
	ds_read2_b64 v[52:55], v38 offset0:82 offset1:173
.LBB0_19:
	s_or_b32 exec_lo, exec_lo, s1
	s_waitcnt lgkmcnt(1)
	v_mul_f32_e32 v38, v19, v33
	v_mul_f32_e32 v39, v13, v35
	;; [unrolled: 1-line block ×5, first 2 shown]
	v_fmac_f32_e32 v38, v18, v32
	v_fmac_f32_e32 v39, v12, v34
	s_waitcnt lgkmcnt(0)
	v_mul_f32_e32 v32, v15, v36
	v_fmac_f32_e32 v40, v16, v2
	v_fma_f32 v41, v16, v3, -v17
	v_fma_f32 v18, v18, v33, -v19
	v_add_f32_e32 v2, v38, v39
	v_fma_f32 v19, v14, v37, -v32
	v_mul_f32_e32 v3, v13, v34
	v_mul_f32_e32 v13, v15, v37
	v_add_f32_e32 v15, v0, v40
	v_fma_f32 v2, -0.5, v2, v0
	v_sub_f32_e32 v17, v41, v19
	v_fma_f32 v32, v12, v35, -v3
	v_fmac_f32_e32 v13, v14, v36
	v_add_f32_e32 v3, v15, v38
	v_sub_f32_e32 v14, v40, v38
	v_fmamk_f32 v12, v17, 0xbf737871, v2
	v_sub_f32_e32 v15, v18, v32
	v_sub_f32_e32 v16, v13, v39
	v_fmac_f32_e32 v2, 0x3f737871, v17
	v_add_f32_e32 v33, v40, v13
	v_add_f32_e32 v3, v3, v39
	v_fmac_f32_e32 v12, 0xbf167918, v15
	v_add_f32_e32 v16, v14, v16
	v_fmac_f32_e32 v2, 0x3f167918, v15
	v_fma_f32 v0, -0.5, v33, v0
	v_add_f32_e32 v14, v3, v13
	v_add_f32_e32 v3, v18, v32
	v_fmac_f32_e32 v12, 0x3e9e377a, v16
	v_fmac_f32_e32 v2, 0x3e9e377a, v16
	v_fmamk_f32 v16, v15, 0x3f737871, v0
	v_fmac_f32_e32 v0, 0xbf737871, v15
	v_sub_f32_e32 v33, v38, v40
	v_sub_f32_e32 v34, v39, v13
	v_add_f32_e32 v15, v1, v41
	v_fmac_f32_e32 v16, 0xbf167918, v17
	v_fmac_f32_e32 v0, 0x3f167918, v17
	v_add_f32_e32 v17, v41, v19
	v_fma_f32 v3, -0.5, v3, v1
	v_sub_f32_e32 v35, v40, v13
	v_add_f32_e32 v33, v33, v34
	v_add_f32_e32 v15, v15, v18
	v_sub_f32_e32 v34, v38, v39
	v_fma_f32 v1, -0.5, v17, v1
	v_fmamk_f32 v13, v35, 0x3f737871, v3
	v_fmac_f32_e32 v16, 0x3e9e377a, v33
	v_fmac_f32_e32 v0, 0x3e9e377a, v33
	v_sub_f32_e32 v33, v41, v18
	v_sub_f32_e32 v36, v19, v32
	v_add_f32_e32 v15, v15, v32
	v_fmamk_f32 v17, v34, 0xbf737871, v1
	v_sub_f32_e32 v18, v18, v41
	v_sub_f32_e32 v32, v32, v19
	v_fmac_f32_e32 v1, 0x3f737871, v34
	v_fmac_f32_e32 v3, 0xbf737871, v35
	;; [unrolled: 1-line block ×3, first 2 shown]
	v_add_f32_e32 v33, v33, v36
	v_fmac_f32_e32 v17, 0x3f167918, v35
	v_add_f32_e32 v18, v18, v32
	v_fmac_f32_e32 v1, 0xbf167918, v35
	v_fmac_f32_e32 v3, 0xbf167918, v34
	v_add_f32_e32 v15, v15, v19
	v_fmac_f32_e32 v13, 0x3e9e377a, v33
	v_fmac_f32_e32 v17, 0x3e9e377a, v18
	;; [unrolled: 1-line block ×4, first 2 shown]
	s_barrier
	buffer_gl0_inv
	ds_write2_b64 v73, v[14:15], v[12:13] offset1:13
	ds_write2_b64 v73, v[16:17], v[0:1] offset0:26 offset1:39
	ds_write_b64 v73, v[2:3] offset:416
	s_and_saveexec_b32 s1, s0
	s_cbranch_execz .LBB0_21
; %bb.20:
	v_mul_f32_e32 v0, v9, v56
	v_mul_f32_e32 v1, v11, v58
	;; [unrolled: 1-line block ×5, first 2 shown]
	v_fma_f32 v12, v8, v57, -v0
	v_fma_f32 v13, v10, v59, -v1
	v_mul_f32_e32 v15, v7, v55
	v_fma_f32 v5, v4, v53, -v3
	v_fmac_f32_e32 v14, v4, v52
	v_fma_f32 v4, v6, v55, -v2
	v_mul_f32_e32 v11, v11, v59
	v_mul_f32_e32 v9, v9, v57
	v_fmac_f32_e32 v15, v6, v54
	v_sub_f32_e32 v6, v12, v13
	v_sub_f32_e32 v7, v4, v5
	v_fmac_f32_e32 v11, v10, v58
	v_fmac_f32_e32 v9, v8, v56
	v_add_f32_e32 v0, v13, v5
	v_sub_f32_e32 v18, v15, v14
	v_add_f32_e32 v32, v7, v6
	v_add_f32_e32 v6, v12, v64
	;; [unrolled: 1-line block ×3, first 2 shown]
	v_sub_f32_e32 v17, v9, v11
	v_fma_f32 v1, -0.5, v0, v64
	v_sub_f32_e32 v16, v11, v14
	v_add_f32_e32 v6, v13, v6
	v_fmac_f32_e32 v64, -0.5, v7
	v_sub_f32_e32 v10, v12, v4
	v_sub_f32_e32 v19, v13, v5
	v_add_f32_e32 v17, v18, v17
	v_add_f32_e32 v18, v63, v9
	v_sub_f32_e32 v12, v13, v12
	v_sub_f32_e32 v13, v5, v4
	v_add_f32_e32 v2, v11, v14
	v_sub_f32_e32 v8, v9, v15
	v_add_f32_e32 v6, v5, v6
	v_fmamk_f32 v5, v16, 0x3f737871, v64
	v_fmac_f32_e32 v64, 0xbf737871, v16
	v_add_f32_e32 v18, v11, v18
	v_add_f32_e32 v12, v13, v12
	;; [unrolled: 1-line block ×3, first 2 shown]
	v_fma_f32 v0, -0.5, v2, v63
	v_fmamk_f32 v3, v8, 0x3f737871, v1
	v_fmac_f32_e32 v5, 0xbf167918, v8
	v_fmac_f32_e32 v64, 0x3f167918, v8
	;; [unrolled: 1-line block ×3, first 2 shown]
	v_mov_b32_e32 v8, 0x41
	v_add_f32_e32 v7, v4, v6
	v_add_f32_e32 v4, v14, v18
	v_fmac_f32_e32 v63, -0.5, v13
	v_fmamk_f32 v2, v10, 0xbf737871, v0
	v_mul_u32_u24_sdwa v8, v71, v8 dst_sel:DWORD dst_unused:UNUSED_PAD src0_sel:WORD_0 src1_sel:DWORD
	v_sub_f32_e32 v9, v11, v9
	v_add_f32_e32 v6, v15, v4
	v_sub_f32_e32 v11, v14, v15
	v_fmamk_f32 v4, v19, 0xbf737871, v63
	v_fmac_f32_e32 v63, 0x3f737871, v19
	v_fmac_f32_e32 v0, 0x3f737871, v10
	;; [unrolled: 1-line block ×4, first 2 shown]
	v_add_nc_u32_sdwa v8, v8, v70 dst_sel:DWORD dst_unused:UNUSED_PAD src0_sel:DWORD src1_sel:BYTE_0
	v_add_f32_e32 v9, v11, v9
	v_fmac_f32_e32 v4, 0x3f167918, v10
	v_fmac_f32_e32 v63, 0xbf167918, v10
	;; [unrolled: 1-line block ×6, first 2 shown]
	v_lshl_add_u32 v8, v8, 3, v67
	v_fmac_f32_e32 v5, 0x3e9e377a, v12
	v_fmac_f32_e32 v64, 0x3e9e377a, v12
	;; [unrolled: 1-line block ×6, first 2 shown]
	ds_write2_b64 v8, v[6:7], v[2:3] offset1:13
	ds_write2_b64 v8, v[63:64], v[4:5] offset0:26 offset1:39
	ds_write_b64 v8, v[0:1] offset:416
.LBB0_21:
	s_or_b32 exec_lo, exec_lo, s1
	s_waitcnt lgkmcnt(0)
	s_barrier
	buffer_gl0_inv
	ds_read2_b64 v[0:3], v68 offset0:65 offset1:130
	v_add_nc_u32_e32 v4, 0x400, v68
	v_add_nc_u32_e32 v8, 0x800, v68
	ds_read2_b64 v[4:7], v4 offset0:67 offset1:132
	ds_read2_b64 v[8:11], v8 offset0:69 offset1:134
	ds_read_b64 v[12:13], v68
	s_waitcnt lgkmcnt(3)
	v_mul_f32_e32 v14, v29, v1
	v_mul_f32_e32 v15, v29, v0
	;; [unrolled: 1-line block ×4, first 2 shown]
	v_fmac_f32_e32 v14, v28, v0
	v_fma_f32 v0, v28, v1, -v15
	v_fmac_f32_e32 v16, v30, v2
	s_waitcnt lgkmcnt(2)
	v_mul_f32_e32 v2, v25, v5
	v_mul_f32_e32 v15, v27, v7
	s_waitcnt lgkmcnt(1)
	v_mul_f32_e32 v18, v21, v9
	v_mul_f32_e32 v19, v21, v8
	;; [unrolled: 1-line block ×4, first 2 shown]
	v_fma_f32 v1, v30, v3, -v17
	v_mul_f32_e32 v3, v25, v4
	v_mul_f32_e32 v17, v27, v6
	v_fmac_f32_e32 v2, v24, v4
	v_fmac_f32_e32 v15, v26, v6
	;; [unrolled: 1-line block ×3, first 2 shown]
	v_fma_f32 v4, v22, v11, -v23
	v_fmac_f32_e32 v18, v20, v8
	v_fma_f32 v6, v20, v9, -v19
	v_fma_f32 v3, v24, v5, -v3
	v_fma_f32 v5, v26, v7, -v17
	v_add_f32_e32 v7, v14, v21
	v_add_f32_e32 v8, v0, v4
	v_sub_f32_e32 v0, v0, v4
	v_add_f32_e32 v4, v16, v18
	v_add_f32_e32 v10, v1, v6
	v_sub_f32_e32 v9, v14, v21
	v_sub_f32_e32 v1, v1, v6
	v_add_f32_e32 v6, v2, v15
	v_add_f32_e32 v14, v3, v5
	v_sub_f32_e32 v2, v15, v2
	;; [unrolled: 4-line block ×3, first 2 shown]
	v_sub_f32_e32 v16, v4, v7
	v_sub_f32_e32 v17, v10, v8
	;; [unrolled: 1-line block ×6, first 2 shown]
	v_add_f32_e32 v5, v6, v5
	v_add_f32_e32 v6, v14, v15
	v_sub_f32_e32 v10, v14, v10
	v_add_f32_e32 v18, v2, v11
	v_add_f32_e32 v19, v3, v1
	v_sub_f32_e32 v20, v2, v11
	v_sub_f32_e32 v11, v11, v9
	;; [unrolled: 1-line block ×5, first 2 shown]
	s_waitcnt lgkmcnt(0)
	v_add_f32_e32 v2, v12, v5
	v_add_f32_e32 v3, v13, v6
	v_mul_f32_e32 v8, 0x3f4a47b2, v8
	v_mul_f32_e32 v12, 0x3d64c772, v4
	;; [unrolled: 1-line block ×3, first 2 shown]
	v_add_f32_e32 v9, v18, v9
	v_add_f32_e32 v0, v19, v0
	v_mul_f32_e32 v7, 0x3f4a47b2, v7
	v_mul_f32_e32 v13, 0x3d64c772, v10
	v_mul_f32_e32 v14, 0x3f08b237, v20
	v_mul_f32_e32 v18, 0xbf5ff5aa, v11
	v_mul_f32_e32 v19, 0xbf5ff5aa, v1
	v_fmamk_f32 v5, v5, 0xbf955555, v2
	v_fmamk_f32 v6, v6, 0xbf955555, v3
	;; [unrolled: 1-line block ×3, first 2 shown]
	v_fma_f32 v12, 0x3f3bfb3b, v16, -v12
	v_fma_f32 v1, 0xbf5ff5aa, v1, -v15
	v_fmamk_f32 v4, v4, 0x3d64c772, v7
	v_fma_f32 v13, 0x3f3bfb3b, v17, -v13
	v_fma_f32 v7, 0xbf3bfb3b, v16, -v7
	;; [unrolled: 1-line block ×3, first 2 shown]
	v_fmamk_f32 v16, v22, 0xbeae86e6, v14
	v_fmamk_f32 v17, v23, 0xbeae86e6, v15
	v_fma_f32 v11, 0xbf5ff5aa, v11, -v14
	v_fma_f32 v14, 0x3eae86e6, v22, -v18
	;; [unrolled: 1-line block ×3, first 2 shown]
	v_add_f32_e32 v19, v10, v6
	v_add_f32_e32 v10, v12, v5
	v_fmac_f32_e32 v1, 0xbee1c552, v0
	v_add_f32_e32 v18, v4, v5
	v_add_f32_e32 v12, v13, v6
	;; [unrolled: 1-line block ×4, first 2 shown]
	v_fmac_f32_e32 v16, 0xbee1c552, v9
	v_fmac_f32_e32 v17, 0xbee1c552, v0
	v_fmac_f32_e32 v15, 0xbee1c552, v0
	v_fmac_f32_e32 v14, 0xbee1c552, v9
	v_fmac_f32_e32 v11, 0xbee1c552, v9
	v_sub_f32_e32 v8, v10, v1
	v_add_f32_e32 v10, v1, v10
	v_add_nc_u32_e32 v0, 0x400, v72
	v_add_nc_u32_e32 v1, 0x800, v72
	v_add_f32_e32 v4, v17, v18
	v_sub_f32_e32 v5, v19, v16
	v_add_f32_e32 v6, v15, v13
	v_sub_f32_e32 v7, v20, v14
	;; [unrolled: 2-line block ×3, first 2 shown]
	v_sub_f32_e32 v12, v13, v15
	v_add_f32_e32 v13, v14, v20
	v_sub_f32_e32 v14, v18, v17
	v_add_f32_e32 v15, v16, v19
	ds_write_b64 v72, v[2:3]
	ds_write2_b64 v72, v[4:5], v[6:7] offset0:65 offset1:130
	ds_write2_b64 v0, v[8:9], v[10:11] offset0:67 offset1:132
	;; [unrolled: 1-line block ×3, first 2 shown]
	s_waitcnt lgkmcnt(0)
	s_barrier
	buffer_gl0_inv
	s_and_b32 exec_lo, exec_lo, vcc_lo
	s_cbranch_execz .LBB0_23
; %bb.22:
	v_add_co_u32 v2, s0, s14, v66
	v_add_co_ci_u32_e64 v3, null, s15, 0, s0
	s_clause 0x7
	global_load_dwordx2 v[26:27], v66, s[14:15]
	global_load_dwordx2 v[28:29], v66, s[14:15] offset:280
	global_load_dwordx2 v[30:31], v66, s[14:15] offset:560
	;; [unrolled: 1-line block ×7, first 2 shown]
	v_add_co_u32 v42, vcc_lo, 0x800, v2
	v_add_co_ci_u32_e32 v43, vcc_lo, 0, v3, vcc_lo
	v_mad_u64_u32 v[2:3], null, s6, v60, 0
	v_mad_u64_u32 v[4:5], null, s4, v65, 0
	s_clause 0x3
	global_load_dwordx2 v[44:45], v[42:43], off offset:192
	global_load_dwordx2 v[46:47], v[42:43], off offset:472
	;; [unrolled: 1-line block ×4, first 2 shown]
	ds_read_b64 v[56:57], v72
	ds_read2_b64 v[10:13], v72 offset0:175 offset1:210
	ds_read2_b64 v[14:17], v0 offset0:117 offset1:152
	;; [unrolled: 1-line block ×4, first 2 shown]
	v_mad_u64_u32 v[6:7], null, s7, v60, v[3:4]
	s_mul_i32 s0, s5, 0x118
	s_mul_hi_u32 s1, s4, 0x118
	s_mul_i32 s2, s4, 0x118
	s_add_i32 s3, s1, s0
	s_mov_b32 s0, 0x12012012
	s_mov_b32 s1, 0x3f620120
	v_mad_u64_u32 v[7:8], null, s5, v65, v[5:6]
	v_mov_b32_e32 v3, v6
	v_lshlrev_b64 v[2:3], 3, v[2:3]
	v_mov_b32_e32 v5, v7
	ds_read2_b64 v[6:9], v72 offset0:105 offset1:140
	v_lshlrev_b64 v[4:5], 3, v[4:5]
	v_add_co_u32 v2, vcc_lo, s12, v2
	v_add_co_ci_u32_e32 v3, vcc_lo, s13, v3, vcc_lo
	v_add_co_u32 v52, vcc_lo, v2, v4
	v_add_co_ci_u32_e32 v53, vcc_lo, v3, v5, vcc_lo
	ds_read2_b64 v[2:5], v72 offset0:35 offset1:70
	v_add_co_u32 v54, vcc_lo, v52, s2
	v_add_co_ci_u32_e32 v55, vcc_lo, s3, v53, vcc_lo
	v_add_co_u32 v58, vcc_lo, v54, s2
	v_add_co_ci_u32_e32 v59, vcc_lo, s3, v55, vcc_lo
	v_add_co_u32 v60, vcc_lo, v58, s2
	v_add_co_ci_u32_e32 v61, vcc_lo, s3, v59, vcc_lo
	v_add_co_u32 v62, vcc_lo, v60, s2
	v_add_co_ci_u32_e32 v63, vcc_lo, s3, v61, vcc_lo
	v_add_co_u32 v64, vcc_lo, v62, s2
	v_add_co_ci_u32_e32 v65, vcc_lo, s3, v63, vcc_lo
	v_add_co_u32 v66, vcc_lo, v64, s2
	v_add_co_ci_u32_e32 v67, vcc_lo, s3, v65, vcc_lo
	v_add_co_u32 v68, vcc_lo, v66, s2
	v_add_co_ci_u32_e32 v69, vcc_lo, s3, v67, vcc_lo
	v_add_co_u32 v70, vcc_lo, v68, s2
	v_add_co_ci_u32_e32 v71, vcc_lo, s3, v69, vcc_lo
	v_add_co_u32 v0, vcc_lo, v70, s2
	v_add_co_ci_u32_e32 v1, vcc_lo, s3, v71, vcc_lo
	s_waitcnt vmcnt(11) lgkmcnt(6)
	v_mul_f32_e32 v72, v57, v27
	s_waitcnt vmcnt(10) lgkmcnt(0)
	v_mul_f32_e32 v73, v3, v29
	v_mul_f32_e32 v27, v56, v27
	s_waitcnt vmcnt(9)
	v_mul_f32_e32 v74, v5, v31
	v_mul_f32_e32 v29, v2, v29
	s_waitcnt vmcnt(8)
	v_mul_f32_e32 v75, v7, v33
	v_mul_f32_e32 v31, v4, v31
	;; [unrolled: 1-line block ×3, first 2 shown]
	v_fmac_f32_e32 v72, v56, v26
	s_waitcnt vmcnt(7)
	v_mul_f32_e32 v76, v9, v35
	v_mul_f32_e32 v35, v8, v35
	v_fmac_f32_e32 v73, v2, v28
	s_waitcnt vmcnt(6)
	v_mul_f32_e32 v77, v11, v37
	v_mul_f32_e32 v37, v10, v37
	v_fma_f32 v26, v26, v57, -v27
	v_fmac_f32_e32 v74, v4, v30
	s_waitcnt vmcnt(5)
	v_mul_f32_e32 v78, v13, v39
	v_mul_f32_e32 v39, v12, v39
	s_waitcnt vmcnt(4)
	v_mul_f32_e32 v79, v15, v41
	v_mul_f32_e32 v41, v14, v41
	v_fma_f32 v27, v28, v3, -v29
	v_fmac_f32_e32 v75, v6, v32
	v_fma_f32 v28, v30, v5, -v31
	v_fma_f32 v29, v32, v7, -v33
	v_cvt_f64_f32_e32 v[2:3], v72
	s_waitcnt vmcnt(3)
	v_mul_f32_e32 v72, v17, v45
	v_mul_f32_e32 v45, v16, v45
	v_fmac_f32_e32 v76, v8, v34
	v_fma_f32 v30, v34, v9, -v35
	v_cvt_f64_f32_e32 v[6:7], v73
	s_waitcnt vmcnt(2)
	v_mul_f32_e32 v73, v19, v47
	v_mul_f32_e32 v47, v18, v47
	v_fmac_f32_e32 v77, v10, v36
	v_fma_f32 v34, v36, v11, -v37
	v_cvt_f64_f32_e32 v[4:5], v26
	v_cvt_f64_f32_e32 v[10:11], v74
	s_waitcnt vmcnt(1)
	v_mul_f32_e32 v74, v21, v49
	v_mul_f32_e32 v49, v20, v49
	v_fmac_f32_e32 v78, v12, v38
	v_fma_f32 v38, v38, v13, -v39
	v_fmac_f32_e32 v79, v14, v40
	v_fma_f32 v56, v40, v15, -v41
	v_cvt_f64_f32_e32 v[8:9], v27
	v_cvt_f64_f32_e32 v[14:15], v75
	s_waitcnt vmcnt(0)
	v_mul_f32_e32 v75, v23, v51
	v_mul_f32_e32 v51, v22, v51
	v_cvt_f64_f32_e32 v[12:13], v28
	v_cvt_f64_f32_e32 v[26:27], v29
	v_fmac_f32_e32 v72, v16, v44
	v_fma_f32 v44, v44, v17, -v45
	v_cvt_f64_f32_e32 v[28:29], v76
	v_cvt_f64_f32_e32 v[30:31], v30
	v_fmac_f32_e32 v73, v18, v46
	v_fma_f32 v45, v46, v19, -v47
	;; [unrolled: 4-line block ×4, first 2 shown]
	v_cvt_f64_f32_e32 v[40:41], v79
	v_cvt_f64_f32_e32 v[56:57], v56
	;; [unrolled: 1-line block ×10, first 2 shown]
	v_mul_f64 v[2:3], v[2:3], s[0:1]
	v_mul_f64 v[4:5], v[4:5], s[0:1]
	;; [unrolled: 1-line block ×24, first 2 shown]
	v_cvt_f32_f64_e32 v2, v[2:3]
	v_cvt_f32_f64_e32 v3, v[4:5]
	;; [unrolled: 1-line block ×24, first 2 shown]
	v_add_co_u32 v28, vcc_lo, v0, s2
	v_add_co_ci_u32_e32 v29, vcc_lo, s3, v1, vcc_lo
	v_add_co_u32 v30, vcc_lo, v28, s2
	v_add_co_ci_u32_e32 v31, vcc_lo, s3, v29, vcc_lo
	global_store_dwordx2 v[52:53], v[2:3], off
	global_store_dwordx2 v[54:55], v[4:5], off
	;; [unrolled: 1-line block ×12, first 2 shown]
	global_load_dwordx2 v[0:1], v[42:43], off offset:1312
	s_waitcnt vmcnt(0)
	v_mul_f32_e32 v2, v25, v1
	v_mul_f32_e32 v1, v24, v1
	v_fmac_f32_e32 v2, v24, v0
	v_fma_f32 v3, v0, v25, -v1
	v_cvt_f64_f32_e32 v[0:1], v2
	v_cvt_f64_f32_e32 v[2:3], v3
	v_mul_f64 v[0:1], v[0:1], s[0:1]
	v_mul_f64 v[2:3], v[2:3], s[0:1]
	v_cvt_f32_f64_e32 v0, v[0:1]
	v_cvt_f32_f64_e32 v1, v[2:3]
	v_add_co_u32 v2, vcc_lo, v30, s2
	v_add_co_ci_u32_e32 v3, vcc_lo, s3, v31, vcc_lo
	global_store_dwordx2 v[2:3], v[0:1], off
.LBB0_23:
	s_endpgm
	.section	.rodata,"a",@progbits
	.p2align	6, 0x0
	.amdhsa_kernel bluestein_single_fwd_len455_dim1_sp_op_CI_CI
		.amdhsa_group_segment_fixed_size 10920
		.amdhsa_private_segment_fixed_size 0
		.amdhsa_kernarg_size 104
		.amdhsa_user_sgpr_count 6
		.amdhsa_user_sgpr_private_segment_buffer 1
		.amdhsa_user_sgpr_dispatch_ptr 0
		.amdhsa_user_sgpr_queue_ptr 0
		.amdhsa_user_sgpr_kernarg_segment_ptr 1
		.amdhsa_user_sgpr_dispatch_id 0
		.amdhsa_user_sgpr_flat_scratch_init 0
		.amdhsa_user_sgpr_private_segment_size 0
		.amdhsa_wavefront_size32 1
		.amdhsa_uses_dynamic_stack 0
		.amdhsa_system_sgpr_private_segment_wavefront_offset 0
		.amdhsa_system_sgpr_workgroup_id_x 1
		.amdhsa_system_sgpr_workgroup_id_y 0
		.amdhsa_system_sgpr_workgroup_id_z 0
		.amdhsa_system_sgpr_workgroup_info 0
		.amdhsa_system_vgpr_workitem_id 0
		.amdhsa_next_free_vgpr 131
		.amdhsa_next_free_sgpr 16
		.amdhsa_reserve_vcc 1
		.amdhsa_reserve_flat_scratch 0
		.amdhsa_float_round_mode_32 0
		.amdhsa_float_round_mode_16_64 0
		.amdhsa_float_denorm_mode_32 3
		.amdhsa_float_denorm_mode_16_64 3
		.amdhsa_dx10_clamp 1
		.amdhsa_ieee_mode 1
		.amdhsa_fp16_overflow 0
		.amdhsa_workgroup_processor_mode 1
		.amdhsa_memory_ordered 1
		.amdhsa_forward_progress 0
		.amdhsa_shared_vgpr_count 0
		.amdhsa_exception_fp_ieee_invalid_op 0
		.amdhsa_exception_fp_denorm_src 0
		.amdhsa_exception_fp_ieee_div_zero 0
		.amdhsa_exception_fp_ieee_overflow 0
		.amdhsa_exception_fp_ieee_underflow 0
		.amdhsa_exception_fp_ieee_inexact 0
		.amdhsa_exception_int_div_zero 0
	.end_amdhsa_kernel
	.text
.Lfunc_end0:
	.size	bluestein_single_fwd_len455_dim1_sp_op_CI_CI, .Lfunc_end0-bluestein_single_fwd_len455_dim1_sp_op_CI_CI
                                        ; -- End function
	.section	.AMDGPU.csdata,"",@progbits
; Kernel info:
; codeLenInByte = 12940
; NumSgprs: 18
; NumVgprs: 131
; ScratchSize: 0
; MemoryBound: 0
; FloatMode: 240
; IeeeMode: 1
; LDSByteSize: 10920 bytes/workgroup (compile time only)
; SGPRBlocks: 2
; VGPRBlocks: 16
; NumSGPRsForWavesPerEU: 18
; NumVGPRsForWavesPerEU: 131
; Occupancy: 7
; WaveLimiterHint : 1
; COMPUTE_PGM_RSRC2:SCRATCH_EN: 0
; COMPUTE_PGM_RSRC2:USER_SGPR: 6
; COMPUTE_PGM_RSRC2:TRAP_HANDLER: 0
; COMPUTE_PGM_RSRC2:TGID_X_EN: 1
; COMPUTE_PGM_RSRC2:TGID_Y_EN: 0
; COMPUTE_PGM_RSRC2:TGID_Z_EN: 0
; COMPUTE_PGM_RSRC2:TIDIG_COMP_CNT: 0
	.text
	.p2alignl 6, 3214868480
	.fill 48, 4, 3214868480
	.type	__hip_cuid_d87cf460d4924df6,@object ; @__hip_cuid_d87cf460d4924df6
	.section	.bss,"aw",@nobits
	.globl	__hip_cuid_d87cf460d4924df6
__hip_cuid_d87cf460d4924df6:
	.byte	0                               ; 0x0
	.size	__hip_cuid_d87cf460d4924df6, 1

	.ident	"AMD clang version 19.0.0git (https://github.com/RadeonOpenCompute/llvm-project roc-6.4.0 25133 c7fe45cf4b819c5991fe208aaa96edf142730f1d)"
	.section	".note.GNU-stack","",@progbits
	.addrsig
	.addrsig_sym __hip_cuid_d87cf460d4924df6
	.amdgpu_metadata
---
amdhsa.kernels:
  - .args:
      - .actual_access:  read_only
        .address_space:  global
        .offset:         0
        .size:           8
        .value_kind:     global_buffer
      - .actual_access:  read_only
        .address_space:  global
        .offset:         8
        .size:           8
        .value_kind:     global_buffer
      - .actual_access:  read_only
        .address_space:  global
        .offset:         16
        .size:           8
        .value_kind:     global_buffer
      - .actual_access:  read_only
        .address_space:  global
        .offset:         24
        .size:           8
        .value_kind:     global_buffer
      - .actual_access:  read_only
        .address_space:  global
        .offset:         32
        .size:           8
        .value_kind:     global_buffer
      - .offset:         40
        .size:           8
        .value_kind:     by_value
      - .address_space:  global
        .offset:         48
        .size:           8
        .value_kind:     global_buffer
      - .address_space:  global
        .offset:         56
        .size:           8
        .value_kind:     global_buffer
      - .address_space:  global
        .offset:         64
        .size:           8
        .value_kind:     global_buffer
      - .address_space:  global
        .offset:         72
        .size:           8
        .value_kind:     global_buffer
      - .offset:         80
        .size:           4
        .value_kind:     by_value
      - .address_space:  global
        .offset:         88
        .size:           8
        .value_kind:     global_buffer
      - .address_space:  global
        .offset:         96
        .size:           8
        .value_kind:     global_buffer
    .group_segment_fixed_size: 10920
    .kernarg_segment_align: 8
    .kernarg_segment_size: 104
    .language:       OpenCL C
    .language_version:
      - 2
      - 0
    .max_flat_workgroup_size: 195
    .name:           bluestein_single_fwd_len455_dim1_sp_op_CI_CI
    .private_segment_fixed_size: 0
    .sgpr_count:     18
    .sgpr_spill_count: 0
    .symbol:         bluestein_single_fwd_len455_dim1_sp_op_CI_CI.kd
    .uniform_work_group_size: 1
    .uses_dynamic_stack: false
    .vgpr_count:     131
    .vgpr_spill_count: 0
    .wavefront_size: 32
    .workgroup_processor_mode: 1
amdhsa.target:   amdgcn-amd-amdhsa--gfx1030
amdhsa.version:
  - 1
  - 2
...

	.end_amdgpu_metadata
